;; amdgpu-corpus repo=pytorch/pytorch kind=compiled arch=gfx1100 opt=O3
	.text
	.amdgcn_target "amdgcn-amd-amdhsa--gfx1100"
	.amdhsa_code_object_version 6
	.section	.text._ZN7rocprim17ROCPRIM_304000_NS6detail31init_lookback_scan_state_kernelINS1_19lookback_scan_stateIhLb1ELb1EEEEEvT_jjPNS5_10value_typeE,"axG",@progbits,_ZN7rocprim17ROCPRIM_304000_NS6detail31init_lookback_scan_state_kernelINS1_19lookback_scan_stateIhLb1ELb1EEEEEvT_jjPNS5_10value_typeE,comdat
	.protected	_ZN7rocprim17ROCPRIM_304000_NS6detail31init_lookback_scan_state_kernelINS1_19lookback_scan_stateIhLb1ELb1EEEEEvT_jjPNS5_10value_typeE ; -- Begin function _ZN7rocprim17ROCPRIM_304000_NS6detail31init_lookback_scan_state_kernelINS1_19lookback_scan_stateIhLb1ELb1EEEEEvT_jjPNS5_10value_typeE
	.globl	_ZN7rocprim17ROCPRIM_304000_NS6detail31init_lookback_scan_state_kernelINS1_19lookback_scan_stateIhLb1ELb1EEEEEvT_jjPNS5_10value_typeE
	.p2align	8
	.type	_ZN7rocprim17ROCPRIM_304000_NS6detail31init_lookback_scan_state_kernelINS1_19lookback_scan_stateIhLb1ELb1EEEEEvT_jjPNS5_10value_typeE,@function
_ZN7rocprim17ROCPRIM_304000_NS6detail31init_lookback_scan_state_kernelINS1_19lookback_scan_stateIhLb1ELb1EEEEEvT_jjPNS5_10value_typeE: ; @_ZN7rocprim17ROCPRIM_304000_NS6detail31init_lookback_scan_state_kernelINS1_19lookback_scan_stateIhLb1ELb1EEEEEvT_jjPNS5_10value_typeE
; %bb.0:
	s_clause 0x2
	s_load_b32 s6, s[0:1], 0x24
	s_load_b64 s[4:5], s[0:1], 0x10
	s_load_b128 s[0:3], s[0:1], 0x0
	s_waitcnt lgkmcnt(0)
	s_and_b32 s6, s6, 0xffff
	s_cmp_eq_u64 s[4:5], 0
	v_mad_u64_u32 v[1:2], null, s15, s6, v[0:1]
	s_cbranch_scc1 .LBB0_8
; %bb.1:
	s_cmp_lt_u32 s3, s2
	s_mov_b32 s7, 0
	s_cselect_b32 s6, s3, 0
	s_mov_b32 s8, exec_lo
	s_delay_alu instid0(VALU_DEP_1)
	v_cmpx_eq_u32_e64 s6, v1
	s_cbranch_execz .LBB0_7
; %bb.2:
	s_add_i32 s6, s3, 32
	v_mov_b32_e32 v0, 0
	s_lshl_b64 s[6:7], s[6:7], 1
	s_mov_b32 s3, 1
	s_add_u32 s6, s0, s6
	s_addc_u32 s7, s1, s7
	global_load_u16 v2, v0, s[6:7] glc
	s_waitcnt vmcnt(0)
	v_cmp_lt_u16_e32 vcc_lo, 0xff, v2
	s_cbranch_vccnz .LBB0_6
.LBB0_3:                                ; =>This Loop Header: Depth=1
                                        ;     Child Loop BB0_4 Depth 2
	s_max_u32 s9, s3, 1
.LBB0_4:                                ;   Parent Loop BB0_3 Depth=1
                                        ; =>  This Inner Loop Header: Depth=2
	s_delay_alu instid0(SALU_CYCLE_1)
	s_add_i32 s9, s9, -1
	s_sleep 1
	s_cmp_eq_u32 s9, 0
	s_cbranch_scc0 .LBB0_4
; %bb.5:                                ;   in Loop: Header=BB0_3 Depth=1
	global_load_u16 v2, v0, s[6:7] glc
	s_cmp_lt_u32 s3, 32
	s_cselect_b32 s9, -1, 0
	s_delay_alu instid0(SALU_CYCLE_1)
	s_cmp_lg_u32 s9, 0
	s_addc_u32 s3, s3, 0
	s_waitcnt vmcnt(0)
	v_cmp_lt_u16_e32 vcc_lo, 0xff, v2
	s_cbranch_vccz .LBB0_3
.LBB0_6:
	v_mov_b32_e32 v0, 0
	global_store_b8 v0, v2, s[4:5]
.LBB0_7:
	s_or_b32 exec_lo, exec_lo, s8
.LBB0_8:
	s_delay_alu instid0(VALU_DEP_1)
	v_cmp_gt_u32_e32 vcc_lo, s2, v1
	s_and_saveexec_b32 s2, vcc_lo
	s_cbranch_execz .LBB0_10
; %bb.9:
	v_dual_mov_b32 v3, 0 :: v_dual_add_nc_u32 v2, 32, v1
	s_delay_alu instid0(VALU_DEP_1) | instskip(NEXT) | instid1(VALU_DEP_1)
	v_lshlrev_b64 v[4:5], 1, v[2:3]
	v_add_co_u32 v4, vcc_lo, s0, v4
	s_delay_alu instid0(VALU_DEP_2)
	v_add_co_ci_u32_e32 v5, vcc_lo, s1, v5, vcc_lo
	global_store_b16 v[4:5], v3, off
.LBB0_10:
	s_or_b32 exec_lo, exec_lo, s2
	s_delay_alu instid0(SALU_CYCLE_1)
	s_mov_b32 s2, exec_lo
	v_cmpx_gt_u32_e32 32, v1
	s_cbranch_execz .LBB0_12
; %bb.11:
	v_mov_b32_e32 v2, 0
	s_delay_alu instid0(VALU_DEP_1) | instskip(SKIP_1) | instid1(VALU_DEP_2)
	v_lshlrev_b64 v[0:1], 1, v[1:2]
	v_mov_b32_e32 v2, 0xffffff00
	v_add_co_u32 v0, vcc_lo, s0, v0
	s_delay_alu instid0(VALU_DEP_3)
	v_add_co_ci_u32_e32 v1, vcc_lo, s1, v1, vcc_lo
	global_store_b16 v[0:1], v2, off
.LBB0_12:
	s_nop 0
	s_sendmsg sendmsg(MSG_DEALLOC_VGPRS)
	s_endpgm
	.section	.rodata,"a",@progbits
	.p2align	6, 0x0
	.amdhsa_kernel _ZN7rocprim17ROCPRIM_304000_NS6detail31init_lookback_scan_state_kernelINS1_19lookback_scan_stateIhLb1ELb1EEEEEvT_jjPNS5_10value_typeE
		.amdhsa_group_segment_fixed_size 0
		.amdhsa_private_segment_fixed_size 0
		.amdhsa_kernarg_size 280
		.amdhsa_user_sgpr_count 15
		.amdhsa_user_sgpr_dispatch_ptr 0
		.amdhsa_user_sgpr_queue_ptr 0
		.amdhsa_user_sgpr_kernarg_segment_ptr 1
		.amdhsa_user_sgpr_dispatch_id 0
		.amdhsa_user_sgpr_private_segment_size 0
		.amdhsa_wavefront_size32 1
		.amdhsa_uses_dynamic_stack 0
		.amdhsa_enable_private_segment 0
		.amdhsa_system_sgpr_workgroup_id_x 1
		.amdhsa_system_sgpr_workgroup_id_y 0
		.amdhsa_system_sgpr_workgroup_id_z 0
		.amdhsa_system_sgpr_workgroup_info 0
		.amdhsa_system_vgpr_workitem_id 0
		.amdhsa_next_free_vgpr 6
		.amdhsa_next_free_sgpr 16
		.amdhsa_reserve_vcc 1
		.amdhsa_float_round_mode_32 0
		.amdhsa_float_round_mode_16_64 0
		.amdhsa_float_denorm_mode_32 3
		.amdhsa_float_denorm_mode_16_64 3
		.amdhsa_dx10_clamp 1
		.amdhsa_ieee_mode 1
		.amdhsa_fp16_overflow 0
		.amdhsa_workgroup_processor_mode 1
		.amdhsa_memory_ordered 1
		.amdhsa_forward_progress 0
		.amdhsa_shared_vgpr_count 0
		.amdhsa_exception_fp_ieee_invalid_op 0
		.amdhsa_exception_fp_denorm_src 0
		.amdhsa_exception_fp_ieee_div_zero 0
		.amdhsa_exception_fp_ieee_overflow 0
		.amdhsa_exception_fp_ieee_underflow 0
		.amdhsa_exception_fp_ieee_inexact 0
		.amdhsa_exception_int_div_zero 0
	.end_amdhsa_kernel
	.section	.text._ZN7rocprim17ROCPRIM_304000_NS6detail31init_lookback_scan_state_kernelINS1_19lookback_scan_stateIhLb1ELb1EEEEEvT_jjPNS5_10value_typeE,"axG",@progbits,_ZN7rocprim17ROCPRIM_304000_NS6detail31init_lookback_scan_state_kernelINS1_19lookback_scan_stateIhLb1ELb1EEEEEvT_jjPNS5_10value_typeE,comdat
.Lfunc_end0:
	.size	_ZN7rocprim17ROCPRIM_304000_NS6detail31init_lookback_scan_state_kernelINS1_19lookback_scan_stateIhLb1ELb1EEEEEvT_jjPNS5_10value_typeE, .Lfunc_end0-_ZN7rocprim17ROCPRIM_304000_NS6detail31init_lookback_scan_state_kernelINS1_19lookback_scan_stateIhLb1ELb1EEEEEvT_jjPNS5_10value_typeE
                                        ; -- End function
	.section	.AMDGPU.csdata,"",@progbits
; Kernel info:
; codeLenInByte = 360
; NumSgprs: 18
; NumVgprs: 6
; ScratchSize: 0
; MemoryBound: 0
; FloatMode: 240
; IeeeMode: 1
; LDSByteSize: 0 bytes/workgroup (compile time only)
; SGPRBlocks: 2
; VGPRBlocks: 0
; NumSGPRsForWavesPerEU: 18
; NumVGPRsForWavesPerEU: 6
; Occupancy: 16
; WaveLimiterHint : 0
; COMPUTE_PGM_RSRC2:SCRATCH_EN: 0
; COMPUTE_PGM_RSRC2:USER_SGPR: 15
; COMPUTE_PGM_RSRC2:TRAP_HANDLER: 0
; COMPUTE_PGM_RSRC2:TGID_X_EN: 1
; COMPUTE_PGM_RSRC2:TGID_Y_EN: 0
; COMPUTE_PGM_RSRC2:TGID_Z_EN: 0
; COMPUTE_PGM_RSRC2:TIDIG_COMP_CNT: 0
	.section	.text._ZN7rocprim17ROCPRIM_304000_NS6detail31init_lookback_scan_state_kernelINS1_19lookback_scan_stateIhLb0ELb1EEEEEvT_jjPNS5_10value_typeE,"axG",@progbits,_ZN7rocprim17ROCPRIM_304000_NS6detail31init_lookback_scan_state_kernelINS1_19lookback_scan_stateIhLb0ELb1EEEEEvT_jjPNS5_10value_typeE,comdat
	.protected	_ZN7rocprim17ROCPRIM_304000_NS6detail31init_lookback_scan_state_kernelINS1_19lookback_scan_stateIhLb0ELb1EEEEEvT_jjPNS5_10value_typeE ; -- Begin function _ZN7rocprim17ROCPRIM_304000_NS6detail31init_lookback_scan_state_kernelINS1_19lookback_scan_stateIhLb0ELb1EEEEEvT_jjPNS5_10value_typeE
	.globl	_ZN7rocprim17ROCPRIM_304000_NS6detail31init_lookback_scan_state_kernelINS1_19lookback_scan_stateIhLb0ELb1EEEEEvT_jjPNS5_10value_typeE
	.p2align	8
	.type	_ZN7rocprim17ROCPRIM_304000_NS6detail31init_lookback_scan_state_kernelINS1_19lookback_scan_stateIhLb0ELb1EEEEEvT_jjPNS5_10value_typeE,@function
_ZN7rocprim17ROCPRIM_304000_NS6detail31init_lookback_scan_state_kernelINS1_19lookback_scan_stateIhLb0ELb1EEEEEvT_jjPNS5_10value_typeE: ; @_ZN7rocprim17ROCPRIM_304000_NS6detail31init_lookback_scan_state_kernelINS1_19lookback_scan_stateIhLb0ELb1EEEEEvT_jjPNS5_10value_typeE
; %bb.0:
	s_clause 0x2
	s_load_b32 s6, s[0:1], 0x24
	s_load_b64 s[4:5], s[0:1], 0x10
	s_load_b128 s[0:3], s[0:1], 0x0
	s_waitcnt lgkmcnt(0)
	s_and_b32 s6, s6, 0xffff
	s_cmp_eq_u64 s[4:5], 0
	v_mad_u64_u32 v[1:2], null, s15, s6, v[0:1]
	s_cbranch_scc1 .LBB1_6
; %bb.1:
	s_cmp_lt_u32 s3, s2
	s_mov_b32 s7, 0
	s_cselect_b32 s6, s3, 0
	s_mov_b32 s8, exec_lo
	s_delay_alu instid0(VALU_DEP_1)
	v_cmpx_eq_u32_e64 s6, v1
	s_cbranch_execz .LBB1_5
; %bb.2:
	s_add_i32 s6, s3, 32
	v_mov_b32_e32 v2, 0
	s_lshl_b64 s[6:7], s[6:7], 1
	s_delay_alu instid0(SALU_CYCLE_1)
	s_add_u32 s6, s0, s6
	s_addc_u32 s7, s1, s7
	global_load_u16 v0, v2, s[6:7] glc
	s_waitcnt vmcnt(0)
	v_cmp_lt_u16_e32 vcc_lo, 0xff, v0
	s_cbranch_vccnz .LBB1_4
.LBB1_3:                                ; =>This Inner Loop Header: Depth=1
	global_load_u16 v0, v2, s[6:7] glc
	s_waitcnt vmcnt(0)
	v_cmp_gt_u16_e32 vcc_lo, 0x100, v0
	s_cbranch_vccnz .LBB1_3
.LBB1_4:
	v_mov_b32_e32 v2, 0
	global_store_b8 v2, v0, s[4:5]
.LBB1_5:
	s_or_b32 exec_lo, exec_lo, s8
.LBB1_6:
	s_delay_alu instid0(VALU_DEP_1)
	v_cmp_gt_u32_e32 vcc_lo, s2, v1
	s_and_saveexec_b32 s2, vcc_lo
	s_cbranch_execz .LBB1_8
; %bb.7:
	v_dual_mov_b32 v3, 0 :: v_dual_add_nc_u32 v2, 32, v1
	s_delay_alu instid0(VALU_DEP_1) | instskip(NEXT) | instid1(VALU_DEP_1)
	v_lshlrev_b64 v[4:5], 1, v[2:3]
	v_add_co_u32 v4, vcc_lo, s0, v4
	s_delay_alu instid0(VALU_DEP_2)
	v_add_co_ci_u32_e32 v5, vcc_lo, s1, v5, vcc_lo
	global_store_b16 v[4:5], v3, off
.LBB1_8:
	s_or_b32 exec_lo, exec_lo, s2
	s_delay_alu instid0(SALU_CYCLE_1)
	s_mov_b32 s2, exec_lo
	v_cmpx_gt_u32_e32 32, v1
	s_cbranch_execz .LBB1_10
; %bb.9:
	v_mov_b32_e32 v2, 0
	s_delay_alu instid0(VALU_DEP_1) | instskip(SKIP_1) | instid1(VALU_DEP_2)
	v_lshlrev_b64 v[0:1], 1, v[1:2]
	v_mov_b32_e32 v2, 0xffffff00
	v_add_co_u32 v0, vcc_lo, s0, v0
	s_delay_alu instid0(VALU_DEP_3)
	v_add_co_ci_u32_e32 v1, vcc_lo, s1, v1, vcc_lo
	global_store_b16 v[0:1], v2, off
.LBB1_10:
	s_nop 0
	s_sendmsg sendmsg(MSG_DEALLOC_VGPRS)
	s_endpgm
	.section	.rodata,"a",@progbits
	.p2align	6, 0x0
	.amdhsa_kernel _ZN7rocprim17ROCPRIM_304000_NS6detail31init_lookback_scan_state_kernelINS1_19lookback_scan_stateIhLb0ELb1EEEEEvT_jjPNS5_10value_typeE
		.amdhsa_group_segment_fixed_size 0
		.amdhsa_private_segment_fixed_size 0
		.amdhsa_kernarg_size 280
		.amdhsa_user_sgpr_count 15
		.amdhsa_user_sgpr_dispatch_ptr 0
		.amdhsa_user_sgpr_queue_ptr 0
		.amdhsa_user_sgpr_kernarg_segment_ptr 1
		.amdhsa_user_sgpr_dispatch_id 0
		.amdhsa_user_sgpr_private_segment_size 0
		.amdhsa_wavefront_size32 1
		.amdhsa_uses_dynamic_stack 0
		.amdhsa_enable_private_segment 0
		.amdhsa_system_sgpr_workgroup_id_x 1
		.amdhsa_system_sgpr_workgroup_id_y 0
		.amdhsa_system_sgpr_workgroup_id_z 0
		.amdhsa_system_sgpr_workgroup_info 0
		.amdhsa_system_vgpr_workitem_id 0
		.amdhsa_next_free_vgpr 6
		.amdhsa_next_free_sgpr 16
		.amdhsa_reserve_vcc 1
		.amdhsa_float_round_mode_32 0
		.amdhsa_float_round_mode_16_64 0
		.amdhsa_float_denorm_mode_32 3
		.amdhsa_float_denorm_mode_16_64 3
		.amdhsa_dx10_clamp 1
		.amdhsa_ieee_mode 1
		.amdhsa_fp16_overflow 0
		.amdhsa_workgroup_processor_mode 1
		.amdhsa_memory_ordered 1
		.amdhsa_forward_progress 0
		.amdhsa_shared_vgpr_count 0
		.amdhsa_exception_fp_ieee_invalid_op 0
		.amdhsa_exception_fp_denorm_src 0
		.amdhsa_exception_fp_ieee_div_zero 0
		.amdhsa_exception_fp_ieee_overflow 0
		.amdhsa_exception_fp_ieee_underflow 0
		.amdhsa_exception_fp_ieee_inexact 0
		.amdhsa_exception_int_div_zero 0
	.end_amdhsa_kernel
	.section	.text._ZN7rocprim17ROCPRIM_304000_NS6detail31init_lookback_scan_state_kernelINS1_19lookback_scan_stateIhLb0ELb1EEEEEvT_jjPNS5_10value_typeE,"axG",@progbits,_ZN7rocprim17ROCPRIM_304000_NS6detail31init_lookback_scan_state_kernelINS1_19lookback_scan_stateIhLb0ELb1EEEEEvT_jjPNS5_10value_typeE,comdat
.Lfunc_end1:
	.size	_ZN7rocprim17ROCPRIM_304000_NS6detail31init_lookback_scan_state_kernelINS1_19lookback_scan_stateIhLb0ELb1EEEEEvT_jjPNS5_10value_typeE, .Lfunc_end1-_ZN7rocprim17ROCPRIM_304000_NS6detail31init_lookback_scan_state_kernelINS1_19lookback_scan_stateIhLb0ELb1EEEEEvT_jjPNS5_10value_typeE
                                        ; -- End function
	.section	.AMDGPU.csdata,"",@progbits
; Kernel info:
; codeLenInByte = 316
; NumSgprs: 18
; NumVgprs: 6
; ScratchSize: 0
; MemoryBound: 0
; FloatMode: 240
; IeeeMode: 1
; LDSByteSize: 0 bytes/workgroup (compile time only)
; SGPRBlocks: 2
; VGPRBlocks: 0
; NumSGPRsForWavesPerEU: 18
; NumVGPRsForWavesPerEU: 6
; Occupancy: 16
; WaveLimiterHint : 0
; COMPUTE_PGM_RSRC2:SCRATCH_EN: 0
; COMPUTE_PGM_RSRC2:USER_SGPR: 15
; COMPUTE_PGM_RSRC2:TRAP_HANDLER: 0
; COMPUTE_PGM_RSRC2:TGID_X_EN: 1
; COMPUTE_PGM_RSRC2:TGID_Y_EN: 0
; COMPUTE_PGM_RSRC2:TGID_Z_EN: 0
; COMPUTE_PGM_RSRC2:TIDIG_COMP_CNT: 0
	.section	.text._ZN7rocprim17ROCPRIM_304000_NS6detail20lookback_scan_kernelILNS1_25lookback_scan_determinismE0ELb0ENS1_19wrapped_scan_configINS0_14default_configEhEEPKhPhSt10multipliesIhEhhNS1_19lookback_scan_stateIhLb1ELb1EEEEEvT2_T3_mT5_T4_T7_jPT6_SK_bb,"axG",@progbits,_ZN7rocprim17ROCPRIM_304000_NS6detail20lookback_scan_kernelILNS1_25lookback_scan_determinismE0ELb0ENS1_19wrapped_scan_configINS0_14default_configEhEEPKhPhSt10multipliesIhEhhNS1_19lookback_scan_stateIhLb1ELb1EEEEEvT2_T3_mT5_T4_T7_jPT6_SK_bb,comdat
	.protected	_ZN7rocprim17ROCPRIM_304000_NS6detail20lookback_scan_kernelILNS1_25lookback_scan_determinismE0ELb0ENS1_19wrapped_scan_configINS0_14default_configEhEEPKhPhSt10multipliesIhEhhNS1_19lookback_scan_stateIhLb1ELb1EEEEEvT2_T3_mT5_T4_T7_jPT6_SK_bb ; -- Begin function _ZN7rocprim17ROCPRIM_304000_NS6detail20lookback_scan_kernelILNS1_25lookback_scan_determinismE0ELb0ENS1_19wrapped_scan_configINS0_14default_configEhEEPKhPhSt10multipliesIhEhhNS1_19lookback_scan_stateIhLb1ELb1EEEEEvT2_T3_mT5_T4_T7_jPT6_SK_bb
	.globl	_ZN7rocprim17ROCPRIM_304000_NS6detail20lookback_scan_kernelILNS1_25lookback_scan_determinismE0ELb0ENS1_19wrapped_scan_configINS0_14default_configEhEEPKhPhSt10multipliesIhEhhNS1_19lookback_scan_stateIhLb1ELb1EEEEEvT2_T3_mT5_T4_T7_jPT6_SK_bb
	.p2align	8
	.type	_ZN7rocprim17ROCPRIM_304000_NS6detail20lookback_scan_kernelILNS1_25lookback_scan_determinismE0ELb0ENS1_19wrapped_scan_configINS0_14default_configEhEEPKhPhSt10multipliesIhEhhNS1_19lookback_scan_stateIhLb1ELb1EEEEEvT2_T3_mT5_T4_T7_jPT6_SK_bb,@function
_ZN7rocprim17ROCPRIM_304000_NS6detail20lookback_scan_kernelILNS1_25lookback_scan_determinismE0ELb0ENS1_19wrapped_scan_configINS0_14default_configEhEEPKhPhSt10multipliesIhEhhNS1_19lookback_scan_stateIhLb1ELb1EEEEEvT2_T3_mT5_T4_T7_jPT6_SK_bb: ; @_ZN7rocprim17ROCPRIM_304000_NS6detail20lookback_scan_kernelILNS1_25lookback_scan_determinismE0ELb0ENS1_19wrapped_scan_configINS0_14default_configEhEEPKhPhSt10multipliesIhEhhNS1_19lookback_scan_stateIhLb1ELb1EEEEEvT2_T3_mT5_T4_T7_jPT6_SK_bb
; %bb.0:
	s_endpgm
	.section	.rodata,"a",@progbits
	.p2align	6, 0x0
	.amdhsa_kernel _ZN7rocprim17ROCPRIM_304000_NS6detail20lookback_scan_kernelILNS1_25lookback_scan_determinismE0ELb0ENS1_19wrapped_scan_configINS0_14default_configEhEEPKhPhSt10multipliesIhEhhNS1_19lookback_scan_stateIhLb1ELb1EEEEEvT2_T3_mT5_T4_T7_jPT6_SK_bb
		.amdhsa_group_segment_fixed_size 0
		.amdhsa_private_segment_fixed_size 0
		.amdhsa_kernarg_size 68
		.amdhsa_user_sgpr_count 15
		.amdhsa_user_sgpr_dispatch_ptr 0
		.amdhsa_user_sgpr_queue_ptr 0
		.amdhsa_user_sgpr_kernarg_segment_ptr 1
		.amdhsa_user_sgpr_dispatch_id 0
		.amdhsa_user_sgpr_private_segment_size 0
		.amdhsa_wavefront_size32 1
		.amdhsa_uses_dynamic_stack 0
		.amdhsa_enable_private_segment 0
		.amdhsa_system_sgpr_workgroup_id_x 1
		.amdhsa_system_sgpr_workgroup_id_y 0
		.amdhsa_system_sgpr_workgroup_id_z 0
		.amdhsa_system_sgpr_workgroup_info 0
		.amdhsa_system_vgpr_workitem_id 0
		.amdhsa_next_free_vgpr 1
		.amdhsa_next_free_sgpr 1
		.amdhsa_reserve_vcc 0
		.amdhsa_float_round_mode_32 0
		.amdhsa_float_round_mode_16_64 0
		.amdhsa_float_denorm_mode_32 3
		.amdhsa_float_denorm_mode_16_64 3
		.amdhsa_dx10_clamp 1
		.amdhsa_ieee_mode 1
		.amdhsa_fp16_overflow 0
		.amdhsa_workgroup_processor_mode 1
		.amdhsa_memory_ordered 1
		.amdhsa_forward_progress 0
		.amdhsa_shared_vgpr_count 0
		.amdhsa_exception_fp_ieee_invalid_op 0
		.amdhsa_exception_fp_denorm_src 0
		.amdhsa_exception_fp_ieee_div_zero 0
		.amdhsa_exception_fp_ieee_overflow 0
		.amdhsa_exception_fp_ieee_underflow 0
		.amdhsa_exception_fp_ieee_inexact 0
		.amdhsa_exception_int_div_zero 0
	.end_amdhsa_kernel
	.section	.text._ZN7rocprim17ROCPRIM_304000_NS6detail20lookback_scan_kernelILNS1_25lookback_scan_determinismE0ELb0ENS1_19wrapped_scan_configINS0_14default_configEhEEPKhPhSt10multipliesIhEhhNS1_19lookback_scan_stateIhLb1ELb1EEEEEvT2_T3_mT5_T4_T7_jPT6_SK_bb,"axG",@progbits,_ZN7rocprim17ROCPRIM_304000_NS6detail20lookback_scan_kernelILNS1_25lookback_scan_determinismE0ELb0ENS1_19wrapped_scan_configINS0_14default_configEhEEPKhPhSt10multipliesIhEhhNS1_19lookback_scan_stateIhLb1ELb1EEEEEvT2_T3_mT5_T4_T7_jPT6_SK_bb,comdat
.Lfunc_end2:
	.size	_ZN7rocprim17ROCPRIM_304000_NS6detail20lookback_scan_kernelILNS1_25lookback_scan_determinismE0ELb0ENS1_19wrapped_scan_configINS0_14default_configEhEEPKhPhSt10multipliesIhEhhNS1_19lookback_scan_stateIhLb1ELb1EEEEEvT2_T3_mT5_T4_T7_jPT6_SK_bb, .Lfunc_end2-_ZN7rocprim17ROCPRIM_304000_NS6detail20lookback_scan_kernelILNS1_25lookback_scan_determinismE0ELb0ENS1_19wrapped_scan_configINS0_14default_configEhEEPKhPhSt10multipliesIhEhhNS1_19lookback_scan_stateIhLb1ELb1EEEEEvT2_T3_mT5_T4_T7_jPT6_SK_bb
                                        ; -- End function
	.section	.AMDGPU.csdata,"",@progbits
; Kernel info:
; codeLenInByte = 4
; NumSgprs: 0
; NumVgprs: 0
; ScratchSize: 0
; MemoryBound: 0
; FloatMode: 240
; IeeeMode: 1
; LDSByteSize: 0 bytes/workgroup (compile time only)
; SGPRBlocks: 0
; VGPRBlocks: 0
; NumSGPRsForWavesPerEU: 1
; NumVGPRsForWavesPerEU: 1
; Occupancy: 16
; WaveLimiterHint : 0
; COMPUTE_PGM_RSRC2:SCRATCH_EN: 0
; COMPUTE_PGM_RSRC2:USER_SGPR: 15
; COMPUTE_PGM_RSRC2:TRAP_HANDLER: 0
; COMPUTE_PGM_RSRC2:TGID_X_EN: 1
; COMPUTE_PGM_RSRC2:TGID_Y_EN: 0
; COMPUTE_PGM_RSRC2:TGID_Z_EN: 0
; COMPUTE_PGM_RSRC2:TIDIG_COMP_CNT: 0
	.section	.text._ZN7rocprim17ROCPRIM_304000_NS6detail20lookback_scan_kernelILNS1_25lookback_scan_determinismE0ELb0ENS1_19wrapped_scan_configINS0_14default_configEhEEPKhPhSt10multipliesIhEhhNS1_19lookback_scan_stateIhLb0ELb1EEEEEvT2_T3_mT5_T4_T7_jPT6_SK_bb,"axG",@progbits,_ZN7rocprim17ROCPRIM_304000_NS6detail20lookback_scan_kernelILNS1_25lookback_scan_determinismE0ELb0ENS1_19wrapped_scan_configINS0_14default_configEhEEPKhPhSt10multipliesIhEhhNS1_19lookback_scan_stateIhLb0ELb1EEEEEvT2_T3_mT5_T4_T7_jPT6_SK_bb,comdat
	.protected	_ZN7rocprim17ROCPRIM_304000_NS6detail20lookback_scan_kernelILNS1_25lookback_scan_determinismE0ELb0ENS1_19wrapped_scan_configINS0_14default_configEhEEPKhPhSt10multipliesIhEhhNS1_19lookback_scan_stateIhLb0ELb1EEEEEvT2_T3_mT5_T4_T7_jPT6_SK_bb ; -- Begin function _ZN7rocprim17ROCPRIM_304000_NS6detail20lookback_scan_kernelILNS1_25lookback_scan_determinismE0ELb0ENS1_19wrapped_scan_configINS0_14default_configEhEEPKhPhSt10multipliesIhEhhNS1_19lookback_scan_stateIhLb0ELb1EEEEEvT2_T3_mT5_T4_T7_jPT6_SK_bb
	.globl	_ZN7rocprim17ROCPRIM_304000_NS6detail20lookback_scan_kernelILNS1_25lookback_scan_determinismE0ELb0ENS1_19wrapped_scan_configINS0_14default_configEhEEPKhPhSt10multipliesIhEhhNS1_19lookback_scan_stateIhLb0ELb1EEEEEvT2_T3_mT5_T4_T7_jPT6_SK_bb
	.p2align	8
	.type	_ZN7rocprim17ROCPRIM_304000_NS6detail20lookback_scan_kernelILNS1_25lookback_scan_determinismE0ELb0ENS1_19wrapped_scan_configINS0_14default_configEhEEPKhPhSt10multipliesIhEhhNS1_19lookback_scan_stateIhLb0ELb1EEEEEvT2_T3_mT5_T4_T7_jPT6_SK_bb,@function
_ZN7rocprim17ROCPRIM_304000_NS6detail20lookback_scan_kernelILNS1_25lookback_scan_determinismE0ELb0ENS1_19wrapped_scan_configINS0_14default_configEhEEPKhPhSt10multipliesIhEhhNS1_19lookback_scan_stateIhLb0ELb1EEEEEvT2_T3_mT5_T4_T7_jPT6_SK_bb: ; @_ZN7rocprim17ROCPRIM_304000_NS6detail20lookback_scan_kernelILNS1_25lookback_scan_determinismE0ELb0ENS1_19wrapped_scan_configINS0_14default_configEhEEPKhPhSt10multipliesIhEhhNS1_19lookback_scan_stateIhLb0ELb1EEEEEvT2_T3_mT5_T4_T7_jPT6_SK_bb
; %bb.0:
	s_clause 0x2
	s_load_b32 s4, s[0:1], 0x28
	s_load_b64 s[2:3], s[0:1], 0x10
	s_load_b128 s[8:11], s[0:1], 0x0
	s_mul_i32 s16, s15, 0x1800
	s_waitcnt lgkmcnt(0)
	s_add_i32 s4, s4, -1
	s_delay_alu instid0(SALU_CYCLE_1) | instskip(NEXT) | instid1(SALU_CYCLE_1)
	s_mul_i32 s5, s4, 0x1800
	s_sub_u32 s12, s2, s5
	s_subb_u32 s13, s3, 0
	s_cmp_lg_u32 s15, s4
	s_mov_b32 s3, -1
	s_cselect_b32 s14, -1, 0
	s_add_u32 s4, s8, s16
	s_addc_u32 s5, s9, 0
	s_and_b32 vcc_lo, exec_lo, s14
	s_cbranch_vccz .LBB3_2
; %bb.1:
	v_add_co_u32 v1, s2, s4, v0
	s_delay_alu instid0(VALU_DEP_1)
	v_add_co_ci_u32_e64 v2, null, s5, 0, s2
	s_clause 0x7
	global_load_u8 v3, v0, s[4:5]
	global_load_u8 v4, v0, s[4:5] offset:256
	global_load_u8 v5, v0, s[4:5] offset:512
	;; [unrolled: 1-line block ×7, first 2 shown]
	v_add_co_u32 v1, vcc_lo, 0x1000, v1
	v_add_co_ci_u32_e32 v2, vcc_lo, 0, v2, vcc_lo
	s_clause 0xf
	global_load_u8 v11, v0, s[4:5] offset:2048
	global_load_u8 v12, v0, s[4:5] offset:2304
	;; [unrolled: 1-line block ×8, first 2 shown]
	global_load_u8 v19, v[1:2], off
	global_load_u8 v20, v[1:2], off offset:256
	global_load_u8 v21, v[1:2], off offset:512
	;; [unrolled: 1-line block ×7, first 2 shown]
	s_mov_b32 s3, 0
	s_waitcnt vmcnt(23)
	ds_store_b8 v0, v3
	s_waitcnt vmcnt(22)
	ds_store_b8 v0, v4 offset:256
	s_waitcnt vmcnt(21)
	ds_store_b8 v0, v5 offset:512
	;; [unrolled: 2-line block ×23, first 2 shown]
	s_waitcnt lgkmcnt(0)
	s_barrier
.LBB3_2:
	v_cmp_gt_u32_e64 s2, s12, v0
	s_and_not1_b32 vcc_lo, exec_lo, s3
	s_cbranch_vccnz .LBB3_52
; %bb.3:
	v_mov_b32_e32 v1, 0
	global_load_u8 v3, v1, s[4:5]
	v_add_co_u32 v1, s3, s4, v0
	s_delay_alu instid0(VALU_DEP_1)
	v_add_co_ci_u32_e64 v2, null, s5, 0, s3
	s_waitcnt vmcnt(0)
	v_mov_b32_e32 v4, v3
	s_and_saveexec_b32 s3, s2
	s_cbranch_execz .LBB3_5
; %bb.4:
	global_load_u8 v4, v[1:2], off
.LBB3_5:
	s_or_b32 exec_lo, exec_lo, s3
	v_or_b32_e32 v5, 0x100, v0
	s_delay_alu instid0(VALU_DEP_1)
	v_cmp_gt_u32_e32 vcc_lo, s12, v5
	v_mov_b32_e32 v5, v3
	s_and_saveexec_b32 s2, vcc_lo
	s_cbranch_execz .LBB3_7
; %bb.6:
	global_load_u8 v5, v[1:2], off offset:256
.LBB3_7:
	s_or_b32 exec_lo, exec_lo, s2
	v_or_b32_e32 v6, 0x200, v0
	s_delay_alu instid0(VALU_DEP_1)
	v_cmp_gt_u32_e32 vcc_lo, s12, v6
	v_mov_b32_e32 v6, v3
	s_and_saveexec_b32 s2, vcc_lo
	s_cbranch_execz .LBB3_9
; %bb.8:
	global_load_u8 v6, v[1:2], off offset:512
.LBB3_9:
	s_or_b32 exec_lo, exec_lo, s2
	v_or_b32_e32 v7, 0x300, v0
	s_delay_alu instid0(VALU_DEP_1)
	v_cmp_gt_u32_e32 vcc_lo, s12, v7
	v_mov_b32_e32 v7, v3
	s_and_saveexec_b32 s2, vcc_lo
	s_cbranch_execz .LBB3_11
; %bb.10:
	global_load_u8 v7, v[1:2], off offset:768
.LBB3_11:
	s_or_b32 exec_lo, exec_lo, s2
	v_or_b32_e32 v8, 0x400, v0
	s_delay_alu instid0(VALU_DEP_1)
	v_cmp_gt_u32_e32 vcc_lo, s12, v8
	v_mov_b32_e32 v8, v3
	s_and_saveexec_b32 s2, vcc_lo
	s_cbranch_execz .LBB3_13
; %bb.12:
	global_load_u8 v8, v[1:2], off offset:1024
.LBB3_13:
	s_or_b32 exec_lo, exec_lo, s2
	v_or_b32_e32 v9, 0x500, v0
	s_delay_alu instid0(VALU_DEP_1)
	v_cmp_gt_u32_e32 vcc_lo, s12, v9
	v_mov_b32_e32 v9, v3
	s_and_saveexec_b32 s2, vcc_lo
	s_cbranch_execz .LBB3_15
; %bb.14:
	global_load_u8 v9, v[1:2], off offset:1280
.LBB3_15:
	s_or_b32 exec_lo, exec_lo, s2
	v_or_b32_e32 v10, 0x600, v0
	s_delay_alu instid0(VALU_DEP_1)
	v_cmp_gt_u32_e32 vcc_lo, s12, v10
	v_mov_b32_e32 v10, v3
	s_and_saveexec_b32 s2, vcc_lo
	s_cbranch_execz .LBB3_17
; %bb.16:
	global_load_u8 v10, v[1:2], off offset:1536
.LBB3_17:
	s_or_b32 exec_lo, exec_lo, s2
	v_or_b32_e32 v11, 0x700, v0
	s_delay_alu instid0(VALU_DEP_1)
	v_cmp_gt_u32_e32 vcc_lo, s12, v11
	v_mov_b32_e32 v11, v3
	s_and_saveexec_b32 s2, vcc_lo
	s_cbranch_execz .LBB3_19
; %bb.18:
	global_load_u8 v11, v[1:2], off offset:1792
.LBB3_19:
	s_or_b32 exec_lo, exec_lo, s2
	v_or_b32_e32 v12, 0x800, v0
	s_delay_alu instid0(VALU_DEP_1)
	v_cmp_gt_u32_e32 vcc_lo, s12, v12
	v_mov_b32_e32 v12, v3
	s_and_saveexec_b32 s2, vcc_lo
	s_cbranch_execz .LBB3_21
; %bb.20:
	global_load_u8 v12, v[1:2], off offset:2048
.LBB3_21:
	s_or_b32 exec_lo, exec_lo, s2
	v_or_b32_e32 v13, 0x900, v0
	s_delay_alu instid0(VALU_DEP_1)
	v_cmp_gt_u32_e32 vcc_lo, s12, v13
	v_mov_b32_e32 v13, v3
	s_and_saveexec_b32 s2, vcc_lo
	s_cbranch_execz .LBB3_23
; %bb.22:
	global_load_u8 v13, v[1:2], off offset:2304
.LBB3_23:
	s_or_b32 exec_lo, exec_lo, s2
	v_or_b32_e32 v14, 0xa00, v0
	s_delay_alu instid0(VALU_DEP_1)
	v_cmp_gt_u32_e32 vcc_lo, s12, v14
	v_mov_b32_e32 v14, v3
	s_and_saveexec_b32 s2, vcc_lo
	s_cbranch_execz .LBB3_25
; %bb.24:
	global_load_u8 v14, v[1:2], off offset:2560
.LBB3_25:
	s_or_b32 exec_lo, exec_lo, s2
	v_or_b32_e32 v15, 0xb00, v0
	s_delay_alu instid0(VALU_DEP_1)
	v_cmp_gt_u32_e32 vcc_lo, s12, v15
	v_mov_b32_e32 v15, v3
	s_and_saveexec_b32 s2, vcc_lo
	s_cbranch_execz .LBB3_27
; %bb.26:
	global_load_u8 v15, v[1:2], off offset:2816
.LBB3_27:
	s_or_b32 exec_lo, exec_lo, s2
	v_or_b32_e32 v16, 0xc00, v0
	s_delay_alu instid0(VALU_DEP_1)
	v_cmp_gt_u32_e32 vcc_lo, s12, v16
	v_mov_b32_e32 v16, v3
	s_and_saveexec_b32 s2, vcc_lo
	s_cbranch_execz .LBB3_29
; %bb.28:
	global_load_u8 v16, v[1:2], off offset:3072
.LBB3_29:
	s_or_b32 exec_lo, exec_lo, s2
	v_or_b32_e32 v17, 0xd00, v0
	s_delay_alu instid0(VALU_DEP_1)
	v_cmp_gt_u32_e32 vcc_lo, s12, v17
	v_mov_b32_e32 v17, v3
	s_and_saveexec_b32 s2, vcc_lo
	s_cbranch_execz .LBB3_31
; %bb.30:
	global_load_u8 v17, v[1:2], off offset:3328
.LBB3_31:
	s_or_b32 exec_lo, exec_lo, s2
	v_or_b32_e32 v18, 0xe00, v0
	s_delay_alu instid0(VALU_DEP_1)
	v_cmp_gt_u32_e32 vcc_lo, s12, v18
	v_mov_b32_e32 v18, v3
	s_and_saveexec_b32 s2, vcc_lo
	s_cbranch_execz .LBB3_33
; %bb.32:
	global_load_u8 v18, v[1:2], off offset:3584
.LBB3_33:
	s_or_b32 exec_lo, exec_lo, s2
	v_or_b32_e32 v19, 0xf00, v0
	s_delay_alu instid0(VALU_DEP_1)
	v_cmp_gt_u32_e32 vcc_lo, s12, v19
	v_mov_b32_e32 v19, v3
	s_and_saveexec_b32 s2, vcc_lo
	s_cbranch_execz .LBB3_35
; %bb.34:
	global_load_u8 v19, v[1:2], off offset:3840
.LBB3_35:
	s_or_b32 exec_lo, exec_lo, s2
	v_or_b32_e32 v20, 0x1000, v0
	s_delay_alu instid0(VALU_DEP_1)
	v_cmp_gt_u32_e32 vcc_lo, s12, v20
	v_mov_b32_e32 v20, v3
	s_and_saveexec_b32 s2, vcc_lo
	s_cbranch_execz .LBB3_37
; %bb.36:
	v_add_co_u32 v20, vcc_lo, 0x1000, v1
	v_add_co_ci_u32_e32 v21, vcc_lo, 0, v2, vcc_lo
	global_load_u8 v20, v[20:21], off
.LBB3_37:
	s_or_b32 exec_lo, exec_lo, s2
	v_or_b32_e32 v21, 0x1100, v0
	s_delay_alu instid0(VALU_DEP_1)
	v_cmp_gt_u32_e32 vcc_lo, s12, v21
	v_mov_b32_e32 v21, v3
	s_and_saveexec_b32 s2, vcc_lo
	s_cbranch_execz .LBB3_39
; %bb.38:
	v_add_co_u32 v21, vcc_lo, 0x1000, v1
	v_add_co_ci_u32_e32 v22, vcc_lo, 0, v2, vcc_lo
	global_load_u8 v21, v[21:22], off offset:256
.LBB3_39:
	s_or_b32 exec_lo, exec_lo, s2
	v_or_b32_e32 v22, 0x1200, v0
	s_delay_alu instid0(VALU_DEP_1)
	v_cmp_gt_u32_e32 vcc_lo, s12, v22
	v_mov_b32_e32 v22, v3
	s_and_saveexec_b32 s2, vcc_lo
	s_cbranch_execz .LBB3_41
; %bb.40:
	v_add_co_u32 v22, vcc_lo, 0x1000, v1
	v_add_co_ci_u32_e32 v23, vcc_lo, 0, v2, vcc_lo
	global_load_u8 v22, v[22:23], off offset:512
.LBB3_41:
	;; [unrolled: 12-line block ×6, first 2 shown]
	s_or_b32 exec_lo, exec_lo, s2
	v_or_b32_e32 v27, 0x1700, v0
	s_mov_b32 s2, exec_lo
	s_delay_alu instid0(VALU_DEP_1)
	v_cmpx_gt_u32_e64 s12, v27
	s_cbranch_execz .LBB3_51
; %bb.50:
	v_add_co_u32 v1, vcc_lo, 0x1000, v1
	v_add_co_ci_u32_e32 v2, vcc_lo, 0, v2, vcc_lo
	global_load_u8 v3, v[1:2], off offset:1792
.LBB3_51:
	s_or_b32 exec_lo, exec_lo, s2
	s_waitcnt vmcnt(0)
	ds_store_b8 v0, v4
	ds_store_b8 v0, v5 offset:256
	ds_store_b8 v0, v6 offset:512
	;; [unrolled: 1-line block ×23, first 2 shown]
	s_waitcnt lgkmcnt(0)
	s_barrier
.LBB3_52:
	v_mul_u32_u24_e32 v11, 24, v0
	buffer_gl0_inv
	s_load_b64 s[8:9], s[0:1], 0x20
	v_mbcnt_lo_u32_b32 v30, -1, 0
	v_lshrrev_b32_e32 v31, 5, v0
	ds_load_2addr_b64 v[1:4], v11 offset1:1
	ds_load_b64 v[5:6], v11 offset:16
	v_or_b32_e32 v32, 31, v0
	s_cmp_lg_u32 s15, 0
	s_waitcnt lgkmcnt(0)
	s_barrier
	buffer_gl0_inv
	v_lshrrev_b32_e32 v27, 8, v1
	v_lshrrev_b32_e32 v28, 16, v1
	;; [unrolled: 1-line block ×18, first 2 shown]
	s_cbranch_scc0 .LBB3_78
; %bb.53:
	v_mul_lo_u16 v7, v27, v1
	s_mov_b32 s2, exec_lo
	s_delay_alu instid0(VALU_DEP_1) | instskip(NEXT) | instid1(VALU_DEP_1)
	v_mul_lo_u16 v7, v7, v28
	v_mul_lo_u16 v7, v7, v29
	s_delay_alu instid0(VALU_DEP_1) | instskip(NEXT) | instid1(VALU_DEP_1)
	v_mul_lo_u16 v7, v7, v2
	v_mul_lo_u16 v7, v7, v24
	;; [unrolled: 3-line block ×11, first 2 shown]
	s_delay_alu instid0(VALU_DEP_1) | instskip(NEXT) | instid1(VALU_DEP_1)
	v_and_b32_e32 v8, 0xff, v7
	v_mov_b32_dpp v9, v8 row_shr:1 row_mask:0xf bank_mask:0xf
	s_delay_alu instid0(VALU_DEP_1) | instskip(SKIP_1) | instid1(VALU_DEP_2)
	v_mul_lo_u16 v9, v7, v9
	v_and_b32_e32 v10, 15, v30
	v_and_b32_e32 v33, 0xff, v9
	s_delay_alu instid0(VALU_DEP_2) | instskip(NEXT) | instid1(VALU_DEP_2)
	v_cmp_eq_u32_e32 vcc_lo, 0, v10
	v_cndmask_b32_e32 v8, v33, v8, vcc_lo
	v_cndmask_b32_e32 v7, v9, v7, vcc_lo
	v_cmp_lt_u32_e32 vcc_lo, 1, v10
	s_delay_alu instid0(VALU_DEP_3) | instskip(NEXT) | instid1(VALU_DEP_1)
	v_mov_b32_dpp v9, v8 row_shr:2 row_mask:0xf bank_mask:0xf
	v_mul_lo_u16 v9, v7, v9
	s_delay_alu instid0(VALU_DEP_1) | instskip(SKIP_1) | instid1(VALU_DEP_2)
	v_and_b32_e32 v33, 0xff, v9
	v_cndmask_b32_e32 v7, v7, v9, vcc_lo
	v_cndmask_b32_e32 v8, v8, v33, vcc_lo
	v_cmp_lt_u32_e32 vcc_lo, 3, v10
	s_delay_alu instid0(VALU_DEP_2) | instskip(NEXT) | instid1(VALU_DEP_1)
	v_mov_b32_dpp v9, v8 row_shr:4 row_mask:0xf bank_mask:0xf
	v_mul_lo_u16 v9, v7, v9
	s_delay_alu instid0(VALU_DEP_1) | instskip(SKIP_1) | instid1(VALU_DEP_2)
	v_and_b32_e32 v33, 0xff, v9
	v_cndmask_b32_e32 v7, v7, v9, vcc_lo
	v_cndmask_b32_e32 v8, v8, v33, vcc_lo
	v_cmp_lt_u32_e32 vcc_lo, 7, v10
	v_and_b32_e32 v10, 16, v30
	s_delay_alu instid0(VALU_DEP_3) | instskip(NEXT) | instid1(VALU_DEP_1)
	v_mov_b32_dpp v9, v8 row_shr:8 row_mask:0xf bank_mask:0xf
	v_mul_lo_u16 v9, v7, v9
	s_delay_alu instid0(VALU_DEP_1) | instskip(SKIP_1) | instid1(VALU_DEP_2)
	v_and_b32_e32 v33, 0xff, v9
	v_cndmask_b32_e32 v7, v7, v9, vcc_lo
	v_cndmask_b32_e32 v8, v8, v33, vcc_lo
	v_cmp_ne_u32_e32 vcc_lo, 0, v10
	ds_swizzle_b32 v8, v8 offset:swizzle(BROADCAST,32,15)
	s_waitcnt lgkmcnt(0)
	v_cndmask_b32_e32 v8, 1, v8, vcc_lo
	s_delay_alu instid0(VALU_DEP_1)
	v_mul_lo_u16 v7, v7, v8
	v_cmpx_eq_u32_e64 v32, v0
	s_cbranch_execz .LBB3_55
; %bb.54:
	ds_store_b8 v31, v7
.LBB3_55:
	s_or_b32 exec_lo, exec_lo, s2
	s_delay_alu instid0(SALU_CYCLE_1)
	s_mov_b32 s2, exec_lo
	s_waitcnt lgkmcnt(0)
	s_barrier
	buffer_gl0_inv
	v_cmpx_gt_u32_e32 8, v0
	s_cbranch_execz .LBB3_57
; %bb.56:
	ds_load_u8 v8, v0
	s_waitcnt lgkmcnt(0)
	v_and_b32_e32 v9, 0xff, v8
	s_delay_alu instid0(VALU_DEP_1) | instskip(NEXT) | instid1(VALU_DEP_1)
	v_mov_b32_dpp v10, v9 row_shr:1 row_mask:0xf bank_mask:0xf
	v_mul_lo_u16 v10, v8, v10
	v_and_b32_e32 v33, 7, v30
	s_delay_alu instid0(VALU_DEP_2) | instskip(NEXT) | instid1(VALU_DEP_2)
	v_and_b32_e32 v34, 0xff, v10
	v_cmp_eq_u32_e32 vcc_lo, 0, v33
	s_delay_alu instid0(VALU_DEP_2) | instskip(SKIP_2) | instid1(VALU_DEP_3)
	v_cndmask_b32_e32 v9, v34, v9, vcc_lo
	v_cndmask_b32_e32 v8, v10, v8, vcc_lo
	v_cmp_lt_u32_e32 vcc_lo, 1, v33
	v_mov_b32_dpp v10, v9 row_shr:2 row_mask:0xf bank_mask:0xf
	s_delay_alu instid0(VALU_DEP_1) | instskip(NEXT) | instid1(VALU_DEP_1)
	v_mul_lo_u16 v10, v8, v10
	v_and_b32_e32 v34, 0xff, v10
	v_cndmask_b32_e32 v8, v8, v10, vcc_lo
	s_delay_alu instid0(VALU_DEP_2) | instskip(SKIP_1) | instid1(VALU_DEP_2)
	v_cndmask_b32_e32 v9, v9, v34, vcc_lo
	v_cmp_lt_u32_e32 vcc_lo, 3, v33
	v_mov_b32_dpp v9, v9 row_shr:4 row_mask:0xf bank_mask:0xf
	s_delay_alu instid0(VALU_DEP_1) | instskip(NEXT) | instid1(VALU_DEP_1)
	v_cndmask_b32_e32 v9, 1, v9, vcc_lo
	v_mul_lo_u16 v8, v8, v9
	ds_store_b8 v0, v8
.LBB3_57:
	s_or_b32 exec_lo, exec_lo, s2
	v_cmp_gt_u32_e32 vcc_lo, 32, v0
	s_mov_b32 s3, exec_lo
	s_waitcnt lgkmcnt(0)
	s_barrier
	buffer_gl0_inv
                                        ; implicit-def: $vgpr33
	v_cmpx_lt_u32_e32 31, v0
	s_cbranch_execz .LBB3_59
; %bb.58:
	v_add_nc_u32_e32 v8, -1, v31
	ds_load_u8 v33, v8
	s_waitcnt lgkmcnt(0)
	v_mul_lo_u16 v7, v33, v7
.LBB3_59:
	s_or_b32 exec_lo, exec_lo, s3
	v_add_nc_u32_e32 v8, -1, v30
	s_delay_alu instid0(VALU_DEP_2) | instskip(NEXT) | instid1(VALU_DEP_2)
	v_and_b32_e32 v7, 0xff, v7
	v_cmp_gt_i32_e64 s2, 0, v8
	s_delay_alu instid0(VALU_DEP_1) | instskip(SKIP_1) | instid1(VALU_DEP_2)
	v_cndmask_b32_e64 v8, v8, v30, s2
	v_cmp_eq_u32_e64 s2, 0, v30
	v_lshlrev_b32_e32 v8, 2, v8
	ds_bpermute_b32 v34, v8, v7
	s_and_saveexec_b32 s7, vcc_lo
	s_cbranch_execz .LBB3_77
; %bb.60:
	v_mov_b32_e32 v9, 0
	ds_load_u8 v35, v9 offset:7
	s_and_saveexec_b32 s3, s2
	s_cbranch_execz .LBB3_62
; %bb.61:
	s_waitcnt lgkmcnt(0)
	v_and_b32_e32 v7, 0xff, v35
	s_add_i32 s4, s15, 32
	s_mov_b32 s5, 0
	s_delay_alu instid0(SALU_CYCLE_1) | instskip(NEXT) | instid1(VALU_DEP_1)
	s_lshl_b64 s[4:5], s[4:5], 1
	v_or_b32_e32 v7, 0x100, v7
	s_add_u32 s4, s8, s4
	s_addc_u32 s5, s9, s5
	global_store_b16 v9, v7, s[4:5]
.LBB3_62:
	s_or_b32 exec_lo, exec_lo, s3
	v_xad_u32 v7, v30, -1, s15
	s_mov_b32 s4, 0
	s_mov_b32 s3, exec_lo
	s_delay_alu instid0(VALU_DEP_1) | instskip(NEXT) | instid1(VALU_DEP_1)
	v_add_nc_u32_e32 v8, 32, v7
	v_lshlrev_b64 v[8:9], 1, v[8:9]
	s_delay_alu instid0(VALU_DEP_1) | instskip(NEXT) | instid1(VALU_DEP_2)
	v_add_co_u32 v8, vcc_lo, s8, v8
	v_add_co_ci_u32_e32 v9, vcc_lo, s9, v9, vcc_lo
	global_load_u16 v10, v[8:9], off glc
	s_waitcnt vmcnt(0)
	v_lshrrev_b16 v36, 8, v10
	s_delay_alu instid0(VALU_DEP_1)
	v_cmpx_eq_u16_e32 0, v36
	s_cbranch_execz .LBB3_65
.LBB3_63:                               ; =>This Inner Loop Header: Depth=1
	global_load_u16 v10, v[8:9], off glc
	s_waitcnt vmcnt(0)
	v_lshrrev_b16 v36, 8, v10
	s_delay_alu instid0(VALU_DEP_1) | instskip(SKIP_1) | instid1(SALU_CYCLE_1)
	v_cmp_ne_u16_e32 vcc_lo, 0, v36
	s_or_b32 s4, vcc_lo, s4
	s_and_not1_b32 exec_lo, exec_lo, s4
	s_cbranch_execnz .LBB3_63
; %bb.64:
	s_or_b32 exec_lo, exec_lo, s4
.LBB3_65:
	s_delay_alu instid0(SALU_CYCLE_1)
	s_or_b32 exec_lo, exec_lo, s3
	v_cmp_ne_u32_e32 vcc_lo, 31, v30
	v_lshlrev_b32_e64 v38, v30, -1
	v_add_nc_u32_e32 v39, 1, v30
	v_cmp_gt_u32_e64 s3, 30, v30
	v_cmp_gt_u32_e64 s4, 24, v30
	v_add_co_ci_u32_e32 v8, vcc_lo, 0, v30, vcc_lo
	v_cmp_eq_u16_e32 vcc_lo, 2, v36
	s_delay_alu instid0(VALU_DEP_4) | instskip(SKIP_1) | instid1(VALU_DEP_4)
	v_cndmask_b32_e64 v40, 0, 1, s3
	v_cmp_gt_u32_e64 s3, 28, v30
	v_lshlrev_b32_e32 v37, 2, v8
	v_cmp_gt_u32_e64 s5, 16, v30
	v_and_or_b32 v41, vcc_lo, v38, 0x80000000
	s_delay_alu instid0(VALU_DEP_4) | instskip(NEXT) | instid1(VALU_DEP_2)
	v_cndmask_b32_e64 v42, 0, 1, s3
	v_ctz_i32_b32_e32 v45, v41
	s_delay_alu instid0(VALU_DEP_2) | instskip(NEXT) | instid1(VALU_DEP_2)
	v_lshlrev_b32_e32 v42, 2, v42
	v_cmp_le_u32_e32 vcc_lo, v39, v45
	v_and_b32_e32 v9, 0xff, v10
	s_delay_alu instid0(VALU_DEP_3) | instskip(SKIP_3) | instid1(VALU_DEP_1)
	v_add_lshl_u32 v42, v42, v30, 2
	ds_bpermute_b32 v8, v37, v9
	s_waitcnt lgkmcnt(0)
	v_mul_lo_u16 v8, v10, v8
	v_and_b32_e32 v41, 0xff, v8
	v_cndmask_b32_e32 v8, v10, v8, vcc_lo
	s_delay_alu instid0(VALU_DEP_2) | instskip(NEXT) | instid1(VALU_DEP_1)
	v_dual_cndmask_b32 v9, v9, v41 :: v_dual_lshlrev_b32 v40, 1, v40
	v_add_lshl_u32 v40, v40, v30, 2
	ds_bpermute_b32 v41, v40, v9
	s_waitcnt lgkmcnt(0)
	v_mul_lo_u16 v43, v8, v41
	v_add_nc_u32_e32 v41, 2, v30
	s_delay_alu instid0(VALU_DEP_2) | instskip(NEXT) | instid1(VALU_DEP_2)
	v_and_b32_e32 v44, 0xff, v43
	v_cmp_le_u32_e64 s3, v41, v45
	s_delay_alu instid0(VALU_DEP_1)
	v_cndmask_b32_e64 v9, v9, v44, s3
	v_cndmask_b32_e64 v8, v8, v43, s3
	;; [unrolled: 1-line block ×3, first 2 shown]
	s_or_b32 s3, vcc_lo, s3
	ds_bpermute_b32 v44, v42, v9
	s_waitcnt lgkmcnt(0)
	v_mul_lo_u16 v46, v8, v44
	v_lshlrev_b32_e32 v44, 3, v43
	v_add_nc_u32_e32 v43, 4, v30
	s_delay_alu instid0(VALU_DEP_3) | instskip(NEXT) | instid1(VALU_DEP_3)
	v_and_b32_e32 v47, 0xff, v46
	v_add_lshl_u32 v44, v44, v30, 2
	s_delay_alu instid0(VALU_DEP_3) | instskip(NEXT) | instid1(VALU_DEP_1)
	v_cmp_le_u32_e64 s4, v43, v45
	v_cndmask_b32_e64 v9, v9, v47, s4
	v_cndmask_b32_e64 v8, v8, v46, s4
	;; [unrolled: 1-line block ×3, first 2 shown]
	s_or_b32 s3, s4, s3
	ds_bpermute_b32 v47, v44, v9
	s_waitcnt lgkmcnt(0)
	v_mul_lo_u16 v49, v8, v47
	v_lshlrev_b32_e32 v47, 4, v46
	v_add_nc_u32_e32 v46, 8, v30
	s_delay_alu instid0(VALU_DEP_3) | instskip(NEXT) | instid1(VALU_DEP_3)
	v_and_b32_e32 v48, 0xff, v49
	v_add_lshl_u32 v47, v47, v30, 2
	s_delay_alu instid0(VALU_DEP_3) | instskip(NEXT) | instid1(VALU_DEP_1)
	v_cmp_le_u32_e64 s5, v46, v45
	v_cndmask_b32_e64 v9, v9, v48, s5
	v_add_nc_u32_e32 v48, 16, v30
	v_cndmask_b32_e64 v8, v8, v49, s5
	s_or_b32 s3, s5, s3
	ds_bpermute_b32 v9, v47, v9
	v_cmp_le_u32_e64 s6, v48, v45
	s_delay_alu instid0(VALU_DEP_1) | instskip(SKIP_2) | instid1(VALU_DEP_1)
	s_or_b32 vcc_lo, s6, s3
	s_waitcnt lgkmcnt(0)
	v_cndmask_b32_e64 v9, 1, v9, s6
	v_mul_lo_u16 v8, v8, v9
	s_delay_alu instid0(VALU_DEP_1)
	v_dual_cndmask_b32 v9, v10, v8 :: v_dual_mov_b32 v8, 0
	s_branch .LBB3_67
.LBB3_66:                               ;   in Loop: Header=BB3_67 Depth=1
	s_or_b32 exec_lo, exec_lo, s3
	v_cmp_eq_u16_e32 vcc_lo, 2, v36
	v_subrev_nc_u32_e32 v7, 32, v7
	v_and_or_b32 v50, vcc_lo, v38, 0x80000000
	s_delay_alu instid0(VALU_DEP_1) | instskip(NEXT) | instid1(VALU_DEP_1)
	v_ctz_i32_b32_e32 v50, v50
	v_cmp_le_u32_e32 vcc_lo, v39, v50
	v_and_b32_e32 v9, 0xff, v49
	v_cmp_le_u32_e64 s3, v41, v50
	v_cmp_le_u32_e64 s4, v43, v50
	;; [unrolled: 1-line block ×4, first 2 shown]
	ds_bpermute_b32 v10, v37, v9
	s_waitcnt lgkmcnt(0)
	v_mul_lo_u16 v10, v49, v10
	s_delay_alu instid0(VALU_DEP_1) | instskip(SKIP_1) | instid1(VALU_DEP_2)
	v_and_b32_e32 v51, 0xff, v10
	v_cndmask_b32_e32 v10, v49, v10, vcc_lo
	v_cndmask_b32_e32 v9, v9, v51, vcc_lo
	ds_bpermute_b32 v51, v40, v9
	s_waitcnt lgkmcnt(0)
	v_mul_lo_u16 v51, v10, v51
	s_delay_alu instid0(VALU_DEP_1) | instskip(SKIP_1) | instid1(VALU_DEP_2)
	v_and_b32_e32 v52, 0xff, v51
	v_cndmask_b32_e64 v10, v10, v51, s3
	v_cndmask_b32_e64 v9, v9, v52, s3
	s_or_b32 s3, vcc_lo, s3
	s_delay_alu instid0(SALU_CYCLE_1) | instskip(SKIP_2) | instid1(SALU_CYCLE_1)
	s_or_b32 s3, s4, s3
	ds_bpermute_b32 v52, v42, v9
	s_or_b32 s3, s5, s3
	s_or_b32 vcc_lo, s6, s3
	s_waitcnt lgkmcnt(0)
	v_mul_lo_u16 v51, v10, v52
	s_delay_alu instid0(VALU_DEP_1) | instskip(SKIP_1) | instid1(VALU_DEP_2)
	v_and_b32_e32 v52, 0xff, v51
	v_cndmask_b32_e64 v10, v10, v51, s4
	v_cndmask_b32_e64 v9, v9, v52, s4
	ds_bpermute_b32 v52, v44, v9
	s_waitcnt lgkmcnt(0)
	v_mul_lo_u16 v51, v10, v52
	s_delay_alu instid0(VALU_DEP_1) | instskip(SKIP_1) | instid1(VALU_DEP_2)
	v_and_b32_e32 v52, 0xff, v51
	v_cndmask_b32_e64 v10, v10, v51, s5
	v_cndmask_b32_e64 v9, v9, v52, s5
	ds_bpermute_b32 v9, v47, v9
	s_waitcnt lgkmcnt(0)
	v_cndmask_b32_e64 v9, 1, v9, s6
	s_delay_alu instid0(VALU_DEP_1) | instskip(NEXT) | instid1(VALU_DEP_1)
	v_mul_lo_u16 v9, v10, v9
	v_cndmask_b32_e32 v9, v49, v9, vcc_lo
	s_delay_alu instid0(VALU_DEP_1)
	v_mul_lo_u16 v9, v9, v45
.LBB3_67:                               ; =>This Loop Header: Depth=1
                                        ;     Child Loop BB3_70 Depth 2
	s_delay_alu instid0(VALU_DEP_1) | instskip(NEXT) | instid1(VALU_DEP_1)
	v_dual_mov_b32 v45, v9 :: v_dual_and_b32 v10, 0xff, v36
	v_cmp_ne_u16_e32 vcc_lo, 2, v10
	v_cndmask_b32_e64 v10, 0, 1, vcc_lo
	;;#ASMSTART
	;;#ASMEND
	s_delay_alu instid0(VALU_DEP_1)
	v_cmp_ne_u32_e32 vcc_lo, 0, v10
	s_cmp_lg_u32 vcc_lo, exec_lo
	s_cbranch_scc1 .LBB3_72
; %bb.68:                               ;   in Loop: Header=BB3_67 Depth=1
	v_lshlrev_b64 v[9:10], 1, v[7:8]
	s_mov_b32 s3, exec_lo
	s_delay_alu instid0(VALU_DEP_1) | instskip(NEXT) | instid1(VALU_DEP_2)
	v_add_co_u32 v9, vcc_lo, s8, v9
	v_add_co_ci_u32_e32 v10, vcc_lo, s9, v10, vcc_lo
	global_load_u16 v49, v[9:10], off glc
	s_waitcnt vmcnt(0)
	v_lshrrev_b16 v36, 8, v49
	s_delay_alu instid0(VALU_DEP_1)
	v_cmpx_eq_u16_e32 0, v36
	s_cbranch_execz .LBB3_66
; %bb.69:                               ;   in Loop: Header=BB3_67 Depth=1
	s_mov_b32 s4, 0
.LBB3_70:                               ;   Parent Loop BB3_67 Depth=1
                                        ; =>  This Inner Loop Header: Depth=2
	global_load_u16 v49, v[9:10], off glc
	s_waitcnt vmcnt(0)
	v_lshrrev_b16 v36, 8, v49
	s_delay_alu instid0(VALU_DEP_1) | instskip(SKIP_1) | instid1(SALU_CYCLE_1)
	v_cmp_ne_u16_e32 vcc_lo, 0, v36
	s_or_b32 s4, vcc_lo, s4
	s_and_not1_b32 exec_lo, exec_lo, s4
	s_cbranch_execnz .LBB3_70
; %bb.71:                               ;   in Loop: Header=BB3_67 Depth=1
	s_or_b32 exec_lo, exec_lo, s4
	s_branch .LBB3_66
.LBB3_72:                               ;   in Loop: Header=BB3_67 Depth=1
                                        ; implicit-def: $vgpr9
                                        ; implicit-def: $vgpr36
	s_cbranch_execz .LBB3_67
; %bb.73:
	s_and_saveexec_b32 s3, s2
	s_cbranch_execz .LBB3_75
; %bb.74:
	v_mul_lo_u16 v7, v45, v35
	s_add_i32 s4, s15, 32
	s_mov_b32 s5, 0
	v_mov_b32_e32 v8, 0
	s_lshl_b64 s[4:5], s[4:5], 1
	v_and_b32_e32 v7, 0xff, v7
	s_add_u32 s4, s8, s4
	s_addc_u32 s5, s9, s5
	s_delay_alu instid0(VALU_DEP_1)
	v_or_b32_e32 v7, 0x200, v7
	global_store_b16 v8, v7, s[4:5]
.LBB3_75:
	s_or_b32 exec_lo, exec_lo, s3
	v_cmp_eq_u32_e32 vcc_lo, 0, v0
	s_and_b32 exec_lo, exec_lo, vcc_lo
	s_cbranch_execz .LBB3_77
; %bb.76:
	v_mov_b32_e32 v7, 0
	ds_store_b8 v7, v45 offset:7
.LBB3_77:
	s_or_b32 exec_lo, exec_lo, s7
	s_waitcnt lgkmcnt(0)
	v_cndmask_b32_e64 v8, v34, v33, s2
	v_cmp_ne_u32_e32 vcc_lo, 0, v0
	v_mov_b32_e32 v7, 0
	s_waitcnt_vscnt null, 0x0
	s_barrier
	buffer_gl0_inv
	v_cndmask_b32_e32 v8, 1, v8, vcc_lo
	ds_load_u8 v7, v7 offset:7
	v_mul_lo_u16 v8, v8, v1
	s_waitcnt lgkmcnt(0)
	s_delay_alu instid0(VALU_DEP_1)
	v_mul_lo_u16 v7, v8, v7
	s_load_b128 s[4:7], s[0:1], 0x30
	s_branch .LBB3_90
.LBB3_78:
                                        ; implicit-def: $vgpr7
	s_load_b128 s[4:7], s[0:1], 0x30
	s_cbranch_execz .LBB3_90
; %bb.79:
	s_load_b32 s2, s[0:1], 0x40
	v_cmp_eq_u32_e32 vcc_lo, 0, v0
	s_waitcnt lgkmcnt(0)
	s_bitcmp1_b32 s2, 0
	s_cselect_b32 s2, -1, 0
	s_delay_alu instid0(SALU_CYCLE_1) | instskip(NEXT) | instid1(SALU_CYCLE_1)
	s_and_b32 s3, vcc_lo, s2
	s_and_saveexec_b32 s2, s3
	s_cbranch_execz .LBB3_81
; %bb.80:
	v_mov_b32_e32 v7, 0
	global_load_u8 v7, v7, s[4:5]
	s_waitcnt vmcnt(0)
	v_mul_lo_u16 v1, v7, v1
.LBB3_81:
	s_or_b32 exec_lo, exec_lo, s2
	v_mul_lo_u16 v7, v28, v27
	v_and_b32_e32 v10, 15, v30
	s_mov_b32 s3, exec_lo
	s_delay_alu instid0(VALU_DEP_2) | instskip(NEXT) | instid1(VALU_DEP_2)
	v_mul_lo_u16 v7, v7, v29
	v_cmp_eq_u32_e64 s2, 0, v10
	s_delay_alu instid0(VALU_DEP_2) | instskip(NEXT) | instid1(VALU_DEP_1)
	v_mul_lo_u16 v7, v7, v2
	v_mul_lo_u16 v7, v7, v24
	s_delay_alu instid0(VALU_DEP_1) | instskip(NEXT) | instid1(VALU_DEP_1)
	v_mul_lo_u16 v7, v7, v25
	v_mul_lo_u16 v7, v7, v26
	s_delay_alu instid0(VALU_DEP_1) | instskip(NEXT) | instid1(VALU_DEP_1)
	;; [unrolled: 3-line block ×10, first 2 shown]
	v_mul_lo_u16 v7, v7, v1
	v_and_b32_e32 v8, 0xff, v7
	s_delay_alu instid0(VALU_DEP_1) | instskip(NEXT) | instid1(VALU_DEP_1)
	v_mov_b32_dpp v9, v8 row_shr:1 row_mask:0xf bank_mask:0xf
	v_mul_lo_u16 v9, v7, v9
	s_delay_alu instid0(VALU_DEP_1) | instskip(SKIP_1) | instid1(VALU_DEP_2)
	v_and_b32_e32 v33, 0xff, v9
	v_cndmask_b32_e64 v7, v9, v7, s2
	v_cndmask_b32_e64 v8, v33, v8, s2
	v_cmp_lt_u32_e64 s2, 1, v10
	s_delay_alu instid0(VALU_DEP_2) | instskip(NEXT) | instid1(VALU_DEP_1)
	v_mov_b32_dpp v9, v8 row_shr:2 row_mask:0xf bank_mask:0xf
	v_mul_lo_u16 v9, v7, v9
	s_delay_alu instid0(VALU_DEP_1) | instskip(NEXT) | instid1(VALU_DEP_4)
	v_and_b32_e32 v33, 0xff, v9
	v_cndmask_b32_e64 v7, v7, v9, s2
	s_delay_alu instid0(VALU_DEP_2) | instskip(SKIP_1) | instid1(VALU_DEP_2)
	v_cndmask_b32_e64 v8, v8, v33, s2
	v_cmp_lt_u32_e64 s2, 3, v10
	v_mov_b32_dpp v9, v8 row_shr:4 row_mask:0xf bank_mask:0xf
	s_delay_alu instid0(VALU_DEP_1) | instskip(NEXT) | instid1(VALU_DEP_1)
	v_mul_lo_u16 v9, v7, v9
	v_and_b32_e32 v33, 0xff, v9
	s_delay_alu instid0(VALU_DEP_4) | instskip(NEXT) | instid1(VALU_DEP_2)
	v_cndmask_b32_e64 v7, v7, v9, s2
	v_cndmask_b32_e64 v8, v8, v33, s2
	v_cmp_lt_u32_e64 s2, 7, v10
	v_and_b32_e32 v10, 16, v30
	s_delay_alu instid0(VALU_DEP_3) | instskip(NEXT) | instid1(VALU_DEP_1)
	v_mov_b32_dpp v9, v8 row_shr:8 row_mask:0xf bank_mask:0xf
	v_mul_lo_u16 v9, v7, v9
	s_delay_alu instid0(VALU_DEP_1) | instskip(SKIP_1) | instid1(VALU_DEP_2)
	v_and_b32_e32 v33, 0xff, v9
	v_cndmask_b32_e64 v7, v7, v9, s2
	v_cndmask_b32_e64 v8, v8, v33, s2
	v_cmp_ne_u32_e64 s2, 0, v10
	ds_swizzle_b32 v8, v8 offset:swizzle(BROADCAST,32,15)
	s_waitcnt lgkmcnt(0)
	v_cndmask_b32_e64 v8, 1, v8, s2
	s_delay_alu instid0(VALU_DEP_1)
	v_mul_lo_u16 v7, v7, v8
	v_cmpx_eq_u32_e64 v32, v0
	s_cbranch_execz .LBB3_83
; %bb.82:
	ds_store_b8 v31, v7
.LBB3_83:
	s_or_b32 exec_lo, exec_lo, s3
	s_delay_alu instid0(SALU_CYCLE_1)
	s_mov_b32 s3, exec_lo
	s_waitcnt lgkmcnt(0)
	s_barrier
	buffer_gl0_inv
	v_cmpx_gt_u32_e32 8, v0
	s_cbranch_execz .LBB3_85
; %bb.84:
	ds_load_u8 v8, v0
	v_and_b32_e32 v32, 7, v30
	s_delay_alu instid0(VALU_DEP_1) | instskip(SKIP_2) | instid1(VALU_DEP_1)
	v_cmp_eq_u32_e64 s2, 0, v32
	s_waitcnt lgkmcnt(0)
	v_and_b32_e32 v9, 0xff, v8
	v_mov_b32_dpp v10, v9 row_shr:1 row_mask:0xf bank_mask:0xf
	s_delay_alu instid0(VALU_DEP_1) | instskip(NEXT) | instid1(VALU_DEP_1)
	v_mul_lo_u16 v10, v8, v10
	v_and_b32_e32 v33, 0xff, v10
	v_cndmask_b32_e64 v8, v10, v8, s2
	s_delay_alu instid0(VALU_DEP_2) | instskip(SKIP_1) | instid1(VALU_DEP_2)
	v_cndmask_b32_e64 v9, v33, v9, s2
	v_cmp_lt_u32_e64 s2, 1, v32
	v_mov_b32_dpp v10, v9 row_shr:2 row_mask:0xf bank_mask:0xf
	s_delay_alu instid0(VALU_DEP_1) | instskip(NEXT) | instid1(VALU_DEP_1)
	v_mul_lo_u16 v10, v8, v10
	v_and_b32_e32 v33, 0xff, v10
	s_delay_alu instid0(VALU_DEP_4) | instskip(NEXT) | instid1(VALU_DEP_2)
	v_cndmask_b32_e64 v8, v8, v10, s2
	v_cndmask_b32_e64 v9, v9, v33, s2
	v_cmp_lt_u32_e64 s2, 3, v32
	s_delay_alu instid0(VALU_DEP_2) | instskip(NEXT) | instid1(VALU_DEP_1)
	v_mov_b32_dpp v9, v9 row_shr:4 row_mask:0xf bank_mask:0xf
	v_cndmask_b32_e64 v9, 1, v9, s2
	s_delay_alu instid0(VALU_DEP_1)
	v_mul_lo_u16 v8, v8, v9
	ds_store_b8 v0, v8
.LBB3_85:
	s_or_b32 exec_lo, exec_lo, s3
	s_delay_alu instid0(SALU_CYCLE_1)
	s_mov_b32 s3, exec_lo
	s_waitcnt lgkmcnt(0)
	s_barrier
	buffer_gl0_inv
                                        ; implicit-def: $vgpr8
	v_cmpx_lt_u32_e32 31, v0
	s_cbranch_execz .LBB3_87
; %bb.86:
	v_add_nc_u32_e32 v8, -1, v31
	ds_load_u8 v8, v8
	s_waitcnt lgkmcnt(0)
	v_mul_lo_u16 v7, v8, v7
.LBB3_87:
	s_or_b32 exec_lo, exec_lo, s3
	v_add_nc_u32_e32 v9, -1, v30
	s_delay_alu instid0(VALU_DEP_2) | instskip(NEXT) | instid1(VALU_DEP_2)
	v_and_b32_e32 v7, 0xff, v7
	v_cmp_gt_i32_e64 s2, 0, v9
	s_delay_alu instid0(VALU_DEP_1) | instskip(SKIP_1) | instid1(VALU_DEP_2)
	v_cndmask_b32_e64 v9, v9, v30, s2
	v_cmp_eq_u32_e64 s2, 0, v30
	v_lshlrev_b32_e32 v9, 2, v9
	ds_bpermute_b32 v7, v9, v7
	s_waitcnt lgkmcnt(0)
	v_cndmask_b32_e64 v7, v7, v8, s2
	s_delay_alu instid0(VALU_DEP_1)
	v_cndmask_b32_e64 v7, v7, 1, vcc_lo
	s_and_saveexec_b32 s2, vcc_lo
	s_cbranch_execz .LBB3_89
; %bb.88:
	v_mov_b32_e32 v8, 0
	ds_load_u8 v9, v8 offset:7
	s_waitcnt lgkmcnt(0)
	v_or_b32_e32 v9, 0x200, v9
	global_store_b16 v8, v9, s[8:9] offset:64
.LBB3_89:
	s_or_b32 exec_lo, exec_lo, s2
	s_delay_alu instid0(VALU_DEP_1)
	v_mul_lo_u16 v7, v7, v1
.LBB3_90:
	s_delay_alu instid0(VALU_DEP_1)
	v_mul_lo_u16 v1, v7, v27
	s_add_u32 s2, s10, s16
	s_addc_u32 s3, s11, 0
	s_and_b32 vcc_lo, exec_lo, s14
	s_waitcnt lgkmcnt(0)
	s_mov_b32 s4, -1
	v_mul_lo_u16 v8, v1, v28
	s_waitcnt_vscnt null, 0x0
	s_barrier
	buffer_gl0_inv
	v_mul_lo_u16 v9, v8, v29
	s_delay_alu instid0(VALU_DEP_1) | instskip(SKIP_1) | instid1(VALU_DEP_2)
	v_mul_lo_u16 v10, v9, v2
	v_and_b32_e32 v2, 0xff, v7
	v_mul_lo_u16 v24, v10, v24
	s_delay_alu instid0(VALU_DEP_1) | instskip(NEXT) | instid1(VALU_DEP_1)
	v_mul_lo_u16 v25, v24, v25
	v_mul_lo_u16 v26, v25, v26
	s_delay_alu instid0(VALU_DEP_1) | instskip(SKIP_2) | instid1(VALU_DEP_3)
	v_mul_lo_u16 v27, v26, v3
	v_lshlrev_b16 v3, 8, v9
	v_lshlrev_b16 v9, 8, v24
	v_mul_lo_u16 v21, v27, v21
	s_delay_alu instid0(VALU_DEP_1) | instskip(NEXT) | instid1(VALU_DEP_1)
	v_mul_lo_u16 v22, v21, v22
	v_mul_lo_u16 v23, v22, v23
	s_delay_alu instid0(VALU_DEP_1)
	v_mul_lo_u16 v28, v23, v4
	v_lshlrev_b16 v4, 8, v1
	v_and_b32_e32 v1, 0xff, v8
	v_and_b32_e32 v8, 0xff, v10
	;; [unrolled: 1-line block ×3, first 2 shown]
	v_mul_lo_u16 v29, v28, v18
	v_and_b32_e32 v18, 0xff, v27
	s_delay_alu instid0(VALU_DEP_2) | instskip(SKIP_3) | instid1(VALU_DEP_4)
	v_mul_lo_u16 v30, v29, v19
	v_lshlrev_b16 v19, 8, v21
	v_lshlrev_b16 v21, 8, v23
	;; [unrolled: 1-line block ×3, first 2 shown]
	v_mul_lo_u16 v31, v30, v20
	v_and_b32_e32 v20, 0xff, v22
	v_and_b32_e32 v22, 0xff, v28
	v_and_b32_e32 v24, 0xff, v30
	s_delay_alu instid0(VALU_DEP_4) | instskip(SKIP_1) | instid1(VALU_DEP_2)
	v_mul_lo_u16 v5, v31, v5
	v_lshlrev_b16 v25, 8, v31
	v_mul_lo_u16 v17, v5, v17
	v_and_b32_e32 v5, 0xff, v5
	s_delay_alu instid0(VALU_DEP_2) | instskip(NEXT) | instid1(VALU_DEP_1)
	v_mul_lo_u16 v32, v17, v16
	v_mul_lo_u16 v7, v32, v15
	v_lshlrev_b16 v15, 8, v26
	s_delay_alu instid0(VALU_DEP_2) | instskip(SKIP_2) | instid1(VALU_DEP_3)
	v_mul_lo_u16 v16, v7, v6
	v_lshlrev_b16 v6, 8, v17
	v_lshlrev_b16 v7, 8, v7
	v_mul_lo_u16 v14, v16, v14
	s_delay_alu instid0(VALU_DEP_1) | instskip(SKIP_2) | instid1(VALU_DEP_3)
	v_mul_lo_u16 v26, v14, v13
	v_and_b32_e32 v13, 0xff, v16
	v_lshlrev_b16 v16, 8, v14
	v_mul_lo_u16 v12, v26, v12
	v_and_b32_e32 v14, 0xff, v26
	s_delay_alu instid0(VALU_DEP_2)
	v_lshlrev_b16 v17, 8, v12
	v_and_b32_e32 v12, 0xff, v32
	s_cbranch_vccz .LBB3_92
; %bb.91:
	v_or_b32_e32 v26, v22, v23
	v_or_b32_e32 v27, v24, v25
	;; [unrolled: 1-line block ×5, first 2 shown]
	v_and_b32_e32 v26, 0xffff, v26
	v_lshlrev_b32_e32 v27, 16, v27
	v_or_b32_e32 v32, v2, v4
	v_or_b32_e32 v28, v18, v19
	v_or_b32_e32 v33, v13, v16
	v_or_b32_e32 v34, v14, v17
	v_or_b32_e32 v27, v26, v27
	v_lshlrev_b32_e32 v26, 16, v29
	v_and_b32_e32 v29, 0xffff, v30
	v_lshlrev_b32_e32 v30, 16, v31
	v_and_b32_e32 v31, 0xffff, v32
	v_or_b32_e32 v32, v1, v3
	v_or_b32_e32 v35, v5, v6
	;; [unrolled: 1-line block ×3, first 2 shown]
	v_and_b32_e32 v28, 0xffff, v28
	v_and_b32_e32 v33, 0xffff, v33
	v_lshlrev_b32_e32 v32, 16, v32
	v_lshlrev_b32_e32 v34, 16, v34
	v_and_b32_e32 v35, 0xffff, v35
	v_lshlrev_b32_e32 v36, 16, v36
	v_or_b32_e32 v26, v28, v26
	v_or_b32_e32 v29, v29, v30
	;; [unrolled: 1-line block ×5, first 2 shown]
	ds_store_2addr_b64 v11, v[28:29], v[26:27] offset1:1
	ds_store_b64 v11, v[30:31] offset:16
	s_waitcnt lgkmcnt(0)
	s_barrier
	buffer_gl0_inv
	ds_load_u8 v26, v0
	ds_load_u8 v27, v0 offset:256
	ds_load_u8 v28, v0 offset:512
	;; [unrolled: 1-line block ×23, first 2 shown]
	v_add_co_u32 v50, s5, s2, v0
	s_delay_alu instid0(VALU_DEP_1)
	v_add_co_ci_u32_e64 v51, null, s3, 0, s5
	s_waitcnt lgkmcnt(23)
	global_store_b8 v0, v26, s[2:3]
	s_waitcnt lgkmcnt(22)
	global_store_b8 v0, v27, s[2:3] offset:256
	s_waitcnt lgkmcnt(21)
	global_store_b8 v0, v28, s[2:3] offset:512
	s_waitcnt lgkmcnt(20)
	global_store_b8 v0, v29, s[2:3] offset:768
	s_waitcnt lgkmcnt(19)
	global_store_b8 v0, v30, s[2:3] offset:1024
	s_waitcnt lgkmcnt(18)
	global_store_b8 v0, v31, s[2:3] offset:1280
	s_waitcnt lgkmcnt(17)
	global_store_b8 v0, v32, s[2:3] offset:1536
	s_waitcnt lgkmcnt(16)
	global_store_b8 v0, v33, s[2:3] offset:1792
	v_add_co_u32 v26, vcc_lo, 0x1000, v50
	s_mov_b32 s4, 0
	v_add_co_ci_u32_e32 v27, vcc_lo, 0, v51, vcc_lo
	s_waitcnt lgkmcnt(15)
	global_store_b8 v0, v34, s[2:3] offset:2048
	s_waitcnt lgkmcnt(14)
	global_store_b8 v0, v35, s[2:3] offset:2304
	;; [unrolled: 2-line block ×8, first 2 shown]
	s_waitcnt lgkmcnt(7)
	global_store_b8 v[26:27], v42, off
	s_waitcnt lgkmcnt(6)
	global_store_b8 v[26:27], v43, off offset:256
	s_waitcnt lgkmcnt(5)
	global_store_b8 v[26:27], v44, off offset:512
	;; [unrolled: 2-line block ×7, first 2 shown]
.LBB3_92:
	s_and_not1_b32 vcc_lo, exec_lo, s4
	s_cbranch_vccnz .LBB3_149
; %bb.93:
	v_or_b32_e32 v18, v18, v19
	v_or_b32_e32 v4, v2, v4
	v_or_b32_e32 v22, v22, v23
	v_or_b32_e32 v23, v24, v25
	v_or_b32_e32 v19, v20, v21
	v_or_b32_e32 v8, v8, v9
	v_or_b32_e32 v9, v10, v15
	v_or_b32_e32 v1, v1, v3
	v_and_b32_e32 v10, 0xffff, v18
	v_and_b32_e32 v18, 0xffff, v4
	v_or_b32_e32 v3, v13, v16
	v_or_b32_e32 v4, v14, v17
	;; [unrolled: 1-line block ×4, first 2 shown]
	v_and_b32_e32 v20, 0xffff, v22
	v_lshlrev_b32_e32 v21, 16, v23
	v_lshlrev_b32_e32 v15, 16, v19
	v_and_b32_e32 v8, 0xffff, v8
	v_lshlrev_b32_e32 v9, 16, v9
	v_lshlrev_b32_e32 v7, 16, v1
	v_and_b32_e32 v12, 0xffff, v3
	v_lshlrev_b32_e32 v13, 16, v4
	v_and_b32_e32 v5, 0xffff, v5
	v_lshlrev_b32_e32 v14, 16, v6
	v_or_b32_e32 v2, v20, v21
	v_or_b32_e32 v1, v10, v15
	;; [unrolled: 1-line block ×6, first 2 shown]
	ds_store_2addr_b64 v11, v[3:4], v[1:2] offset1:1
	ds_store_b64 v11, v[5:6] offset:16
	v_mov_b32_e32 v1, 0
	s_waitcnt lgkmcnt(0)
	s_waitcnt_vscnt null, 0x0
	s_barrier
	buffer_gl0_inv
	ds_load_u8 v5, v0
	ds_load_u8 v4, v0 offset:256
	ds_load_u8 v7, v0 offset:512
	;; [unrolled: 1-line block ×23, first 2 shown]
	v_add_co_u32 v2, s2, s2, v0
	s_delay_alu instid0(VALU_DEP_1)
	v_add_co_ci_u32_e64 v3, null, s3, 0, s2
	s_mov_b32 s2, exec_lo
	v_cmpx_gt_u32_e64 s12, v0
	s_cbranch_execz .LBB3_95
; %bb.94:
	s_waitcnt lgkmcnt(23)
	global_store_b8 v[2:3], v5, off
.LBB3_95:
	s_or_b32 exec_lo, exec_lo, s2
	v_or_b32_e32 v29, 0x100, v0
	s_mov_b32 s2, exec_lo
	s_delay_alu instid0(VALU_DEP_1)
	v_cmpx_gt_u32_e64 s12, v29
	s_cbranch_execz .LBB3_97
; %bb.96:
	s_waitcnt lgkmcnt(22)
	global_store_b8 v[2:3], v4, off offset:256
.LBB3_97:
	s_or_b32 exec_lo, exec_lo, s2
	v_or_b32_e32 v29, 0x200, v0
	s_mov_b32 s2, exec_lo
	s_delay_alu instid0(VALU_DEP_1)
	v_cmpx_gt_u32_e64 s12, v29
	s_cbranch_execz .LBB3_99
; %bb.98:
	s_waitcnt lgkmcnt(21)
	global_store_b8 v[2:3], v7, off offset:512
.LBB3_99:
	;; [unrolled: 10-line block ×15, first 2 shown]
	s_or_b32 exec_lo, exec_lo, s2
	v_or_b32_e32 v29, 0x1000, v0
	s_mov_b32 s2, exec_lo
	s_delay_alu instid0(VALU_DEP_1)
	v_cmpx_gt_u32_e64 s12, v29
	s_cbranch_execz .LBB3_127
; %bb.126:
	v_add_co_u32 v29, vcc_lo, 0x1000, v2
	v_add_co_ci_u32_e32 v30, vcc_lo, 0, v3, vcc_lo
	s_waitcnt lgkmcnt(7)
	global_store_b8 v[29:30], v23, off
.LBB3_127:
	s_or_b32 exec_lo, exec_lo, s2
	v_or_b32_e32 v29, 0x1100, v0
	s_mov_b32 s2, exec_lo
	s_delay_alu instid0(VALU_DEP_1)
	v_cmpx_gt_u32_e64 s12, v29
	s_cbranch_execz .LBB3_129
; %bb.128:
	v_add_co_u32 v29, vcc_lo, 0x1000, v2
	v_add_co_ci_u32_e32 v30, vcc_lo, 0, v3, vcc_lo
	s_waitcnt lgkmcnt(6)
	global_store_b8 v[29:30], v26, off offset:256
.LBB3_129:
	s_or_b32 exec_lo, exec_lo, s2
	v_or_b32_e32 v29, 0x1200, v0
	s_mov_b32 s2, exec_lo
	s_delay_alu instid0(VALU_DEP_1)
	v_cmpx_gt_u32_e64 s12, v29
	s_cbranch_execz .LBB3_131
; %bb.130:
	v_add_co_u32 v29, vcc_lo, 0x1000, v2
	v_add_co_ci_u32_e32 v30, vcc_lo, 0, v3, vcc_lo
	s_waitcnt lgkmcnt(5)
	global_store_b8 v[29:30], v25, off offset:512
.LBB3_131:
	;; [unrolled: 12-line block ×7, first 2 shown]
	s_or_b32 exec_lo, exec_lo, s2
	s_load_b32 s0, s[0:1], 0x40
	s_waitcnt lgkmcnt(0)
	s_bfe_u32 s0, s0, 0x10008
	s_delay_alu instid0(SALU_CYCLE_1)
	s_cmp_eq_u32 s0, 0
	s_cbranch_scc1 .LBB3_149
; %bb.142:
	s_add_u32 s0, s12, -1
	s_addc_u32 s1, s13, -1
	s_add_u32 s2, 0, 0xaaaa0000
	s_addc_u32 s3, 0, 42
	s_mul_hi_u32 s5, s2, 0xffffffe8
	s_add_i32 s3, s3, 0xaaaaa80
	s_sub_i32 s5, s5, s2
	s_mul_i32 s8, s3, 0xffffffe8
	s_mul_i32 s4, s2, 0xffffffe8
	s_add_i32 s5, s5, s8
	s_mul_hi_u32 s9, s3, s4
	s_mul_i32 s8, s3, s4
	s_mul_i32 s10, s2, s5
	s_mul_hi_u32 s4, s2, s4
	s_mul_hi_u32 s11, s2, s5
	s_add_u32 s4, s4, s10
	s_addc_u32 s10, 0, s11
	s_mul_hi_u32 s11, s3, s5
	s_add_u32 s4, s4, s8
	s_addc_u32 s4, s10, s9
	s_mul_i32 s5, s3, s5
	s_addc_u32 s8, s11, 0
	s_add_u32 s4, s4, s5
	s_delay_alu instid0(SALU_CYCLE_1) | instskip(SKIP_2) | instid1(VALU_DEP_1)
	v_add_co_u32 v2, s2, s2, s4
	s_addc_u32 s4, 0, s8
	s_cmp_lg_u32 s2, 0
	v_readfirstlane_b32 s2, v2
	s_addc_u32 s3, s3, s4
	s_delay_alu instid0(SALU_CYCLE_1) | instskip(SKIP_1) | instid1(VALU_DEP_1)
	s_mul_i32 s4, s0, s3
	s_mul_hi_u32 s8, s0, s3
	s_mul_hi_u32 s5, s0, s2
	s_mul_i32 s9, s1, s2
	s_add_u32 s4, s5, s4
	s_addc_u32 s5, 0, s8
	s_mul_hi_u32 s2, s1, s2
	s_mul_hi_u32 s8, s1, s3
	s_add_u32 s4, s4, s9
	s_addc_u32 s2, s5, s2
	s_mul_i32 s3, s1, s3
	s_addc_u32 s4, s8, 0
	s_add_u32 s2, s2, s3
	s_addc_u32 s3, 0, s4
	s_mul_i32 s5, s2, 24
	s_add_u32 s4, s2, 1
	v_sub_co_u32 v2, s5, s0, s5
	s_addc_u32 s8, s3, 0
	s_mul_i32 s10, s3, 24
	s_mul_hi_u32 s12, s2, 24
	s_delay_alu instid0(VALU_DEP_1)
	v_sub_co_u32 v3, s11, v2, 24
	s_add_u32 s9, s2, 2
	s_addc_u32 s13, s3, 0
	s_add_i32 s12, s12, s10
	s_cmp_lg_u32 s5, 0
	v_readfirstlane_b32 s5, v3
	s_subb_u32 s10, s1, s12
	s_cmp_lg_u32 s11, 0
	s_subb_u32 s11, s10, 0
	s_delay_alu instid0(VALU_DEP_1) | instskip(SKIP_4) | instid1(SALU_CYCLE_1)
	s_cmp_gt_u32 s5, 23
	s_cselect_b32 s5, -1, 0
	s_cmp_eq_u32 s11, 0
	v_readfirstlane_b32 s11, v2
	s_cselect_b32 s5, s5, -1
	s_cmp_lg_u32 s5, 0
	s_cselect_b32 s4, s9, s4
	s_cselect_b32 s5, s13, s8
	s_cmp_gt_u32 s11, 23
	s_cselect_b32 s8, -1, 0
	s_cmp_eq_u32 s10, 0
	s_cselect_b32 s8, s8, -1
	s_delay_alu instid0(SALU_CYCLE_1) | instskip(SKIP_2) | instid1(SALU_CYCLE_1)
	s_cmp_lg_u32 s8, 0
	s_cselect_b32 s3, s5, s3
	s_cselect_b32 s2, s4, s2
	v_cmp_eq_u64_e32 vcc_lo, s[2:3], v[0:1]
	s_and_saveexec_b32 s2, vcc_lo
	s_cbranch_execz .LBB3_149
; %bb.143:
	v_mul_hi_u32_u24_e32 v1, 24, v0
	v_sub_co_u32 v0, vcc_lo, s0, v11
	s_mov_b32 s0, 0
	s_mov_b32 s4, 0
	s_delay_alu instid0(VALU_DEP_2) | instskip(SKIP_3) | instid1(VALU_DEP_1)
	v_sub_co_ci_u32_e32 v1, vcc_lo, s1, v1, vcc_lo
	s_mov_b32 s3, 0
	s_mov_b32 s2, 0
	s_mov_b32 s1, exec_lo
	v_cmpx_lt_i64_e32 11, v[0:1]
	s_xor_b32 s1, exec_lo, s1
	s_cbranch_execnz .LBB3_150
; %bb.144:
	s_and_not1_saveexec_b32 s1, s1
	s_cbranch_execnz .LBB3_195
.LBB3_145:
	s_or_b32 exec_lo, exec_lo, s1
	s_and_saveexec_b32 s1, s4
	s_cbranch_execnz .LBB3_212
.LBB3_146:
	s_or_b32 exec_lo, exec_lo, s1
	s_and_saveexec_b32 s1, s3
	s_cbranch_execnz .LBB3_213
.LBB3_147:
	s_or_b32 exec_lo, exec_lo, s1
	s_and_saveexec_b32 s1, s2
	s_delay_alu instid0(SALU_CYCLE_1)
	s_xor_b32 s1, exec_lo, s1
	s_cbranch_execnz .LBB3_214
.LBB3_148:
	s_or_b32 exec_lo, exec_lo, s1
	s_delay_alu instid0(SALU_CYCLE_1)
	s_and_b32 exec_lo, exec_lo, s0
	s_cbranch_execnz .LBB3_215
.LBB3_149:
	s_nop 0
	s_sendmsg sendmsg(MSG_DEALLOC_VGPRS)
	s_endpgm
.LBB3_150:
	s_mov_b32 s5, exec_lo
	v_cmpx_lt_i64_e32 17, v[0:1]
	s_xor_b32 s5, exec_lo, s5
	s_cbranch_execz .LBB3_172
; %bb.151:
	s_mov_b32 s8, exec_lo
                                        ; implicit-def: $vgpr10
	v_cmpx_lt_i64_e32 20, v[0:1]
	s_xor_b32 s8, exec_lo, s8
	s_cbranch_execz .LBB3_161
; %bb.152:
	s_mov_b32 s9, 0
	s_mov_b32 s2, exec_lo
                                        ; implicit-def: $vgpr10
	v_cmpx_lt_i64_e32 21, v[0:1]
	s_xor_b32 s2, exec_lo, s2
	s_cbranch_execz .LBB3_158
; %bb.153:
	s_mov_b32 s9, exec_lo
	v_cmpx_lt_i64_e32 22, v[0:1]
	s_xor_b32 s9, exec_lo, s9
	s_cbranch_execz .LBB3_155
; %bb.154:
	v_mov_b32_e32 v2, 0
                                        ; implicit-def: $vgpr27
	global_store_b8 v2, v28, s[6:7]
.LBB3_155:
	s_or_saveexec_b32 s9, s9
	s_mov_b32 s10, 0
	s_xor_b32 exec_lo, exec_lo, s9
; %bb.156:
	s_delay_alu instid0(SALU_CYCLE_1)
	s_mov_b32 s10, exec_lo
; %bb.157:
	s_or_b32 exec_lo, exec_lo, s9
	v_mov_b32_e32 v10, v27
	s_and_b32 s9, s10, exec_lo
                                        ; implicit-def: $vgpr12
.LBB3_158:
	s_and_not1_saveexec_b32 s2, s2
; %bb.159:
	s_mov_b32 s3, exec_lo
                                        ; implicit-def: $vgpr10
; %bb.160:
	s_or_b32 exec_lo, exec_lo, s2
	s_delay_alu instid0(SALU_CYCLE_1)
	s_and_b32 s2, s9, exec_lo
	s_and_b32 s3, s3, exec_lo
                                        ; implicit-def: $vgpr25
                                        ; implicit-def: $vgpr13
                                        ; implicit-def: $vgpr22
.LBB3_161:
	s_and_not1_saveexec_b32 s8, s8
	s_cbranch_execz .LBB3_171
; %bb.162:
	s_mov_b32 s9, 0
	s_mov_b32 s4, exec_lo
	v_cmpx_lt_i64_e32 18, v[0:1]
	s_xor_b32 s4, exec_lo, s4
	s_cbranch_execz .LBB3_168
; %bb.163:
	s_mov_b32 s10, exec_lo
	v_cmpx_lt_i64_e32 19, v[0:1]
	s_xor_b32 s10, exec_lo, s10
; %bb.164:
	s_mov_b32 s9, exec_lo
                                        ; implicit-def: $vgpr22
; %bb.165:
	s_and_not1_saveexec_b32 s10, s10
	s_cbranch_execz .LBB3_167
; %bb.166:
	v_mov_b32_e32 v2, 0
                                        ; implicit-def: $vgpr13
	global_store_b8 v2, v22, s[6:7]
.LBB3_167:
	s_or_b32 exec_lo, exec_lo, s10
	s_delay_alu instid0(SALU_CYCLE_1)
	s_and_b32 s9, s9, exec_lo
                                        ; implicit-def: $vgpr25
.LBB3_168:
	s_and_not1_saveexec_b32 s4, s4
	s_cbranch_execz .LBB3_170
; %bb.169:
	v_mov_b32_e32 v2, 0
                                        ; implicit-def: $vgpr13
	global_store_b8 v2, v25, s[6:7]
.LBB3_170:
	s_or_b32 exec_lo, exec_lo, s4
	s_delay_alu instid0(SALU_CYCLE_1)
	s_and_b32 s4, s9, exec_lo
                                        ; implicit-def: $vgpr10
                                        ; implicit-def: $vgpr12
.LBB3_171:
	s_or_b32 exec_lo, exec_lo, s8
	s_delay_alu instid0(SALU_CYCLE_1)
	s_and_b32 s2, s2, exec_lo
	s_and_b32 s3, s3, exec_lo
	;; [unrolled: 1-line block ×3, first 2 shown]
                                        ; implicit-def: $vgpr19
                                        ; implicit-def: $vgpr14
                                        ; implicit-def: $vgpr16
                                        ; implicit-def: $vgpr23
                                        ; implicit-def: $vgpr26
.LBB3_172:
	s_and_not1_saveexec_b32 s5, s5
	s_cbranch_execz .LBB3_194
; %bb.173:
	s_mov_b32 s8, s2
	s_mov_b32 s9, exec_lo
	v_cmpx_lt_i64_e32 14, v[0:1]
	s_xor_b32 s9, exec_lo, s9
	s_cbranch_execz .LBB3_183
; %bb.174:
	s_mov_b32 s8, exec_lo
	v_cmpx_lt_i64_e32 15, v[0:1]
	s_xor_b32 s8, exec_lo, s8
	s_cbranch_execz .LBB3_180
; %bb.175:
	;; [unrolled: 5-line block ×3, first 2 shown]
	v_mov_b32_e32 v2, 0
                                        ; implicit-def: $vgpr23
	global_store_b8 v2, v26, s[6:7]
.LBB3_177:
	s_and_not1_saveexec_b32 s10, s10
	s_cbranch_execz .LBB3_179
; %bb.178:
	v_mov_b32_e32 v2, 0
	global_store_b8 v2, v23, s[6:7]
.LBB3_179:
	s_or_b32 exec_lo, exec_lo, s10
                                        ; implicit-def: $vgpr10
.LBB3_180:
	s_or_saveexec_b32 s8, s8
	s_mov_b32 s10, s2
	s_xor_b32 exec_lo, exec_lo, s8
; %bb.181:
	s_delay_alu instid0(SALU_CYCLE_1)
	s_or_b32 s10, s2, exec_lo
; %bb.182:
	s_or_b32 exec_lo, exec_lo, s8
	s_delay_alu instid0(SALU_CYCLE_1) | instskip(SKIP_1) | instid1(SALU_CYCLE_1)
	s_and_not1_b32 s8, s2, exec_lo
	s_and_b32 s10, s10, exec_lo
                                        ; implicit-def: $vgpr19
                                        ; implicit-def: $vgpr14
                                        ; implicit-def: $vgpr16
	s_or_b32 s8, s8, s10
.LBB3_183:
	s_or_saveexec_b32 s9, s9
	s_mov_b32 s10, s3
                                        ; implicit-def: $vgpr12
	s_xor_b32 exec_lo, exec_lo, s9
	s_cbranch_execz .LBB3_193
; %bb.184:
	s_mov_b32 s11, s3
	s_mov_b32 s12, s8
	s_mov_b32 s10, exec_lo
                                        ; implicit-def: $vgpr10
                                        ; implicit-def: $vgpr12
	v_cmpx_lt_i64_e32 12, v[0:1]
	s_xor_b32 s10, exec_lo, s10
	s_cbranch_execz .LBB3_190
; %bb.185:
	s_mov_b32 s11, s8
	s_mov_b32 s12, exec_lo
	v_cmpx_lt_i64_e32 13, v[0:1]
	s_xor_b32 s12, exec_lo, s12
; %bb.186:
	s_or_b32 s11, s8, exec_lo
                                        ; implicit-def: $vgpr14
; %bb.187:
	s_or_saveexec_b32 s13, s12
	s_mov_b32 s12, s3
	s_xor_b32 exec_lo, exec_lo, s13
; %bb.188:
	s_delay_alu instid0(SALU_CYCLE_1)
	s_or_b32 s12, s3, exec_lo
                                        ; implicit-def: $vgpr16
; %bb.189:
	s_or_b32 exec_lo, exec_lo, s13
	v_mov_b32_e32 v10, v16
	v_mov_b32_e32 v12, v14
	s_and_not1_b32 s13, s8, exec_lo
	s_and_b32 s11, s11, exec_lo
	s_and_not1_b32 s14, s3, exec_lo
	s_and_b32 s15, s12, exec_lo
	s_or_b32 s12, s13, s11
	s_or_b32 s11, s14, s15
                                        ; implicit-def: $vgpr19
.LBB3_190:
	s_and_not1_saveexec_b32 s10, s10
; %bb.191:
	v_mov_b32_e32 v12, v19
	s_or_b32 s11, s11, exec_lo
                                        ; implicit-def: $vgpr10
; %bb.192:
	s_or_b32 exec_lo, exec_lo, s10
	s_delay_alu instid0(SALU_CYCLE_1)
	s_and_not1_b32 s8, s8, exec_lo
	s_and_b32 s10, s12, exec_lo
	s_and_not1_b32 s12, s3, exec_lo
	s_and_b32 s11, s11, exec_lo
	s_or_b32 s8, s8, s10
	s_or_b32 s10, s12, s11
.LBB3_193:
	s_or_b32 exec_lo, exec_lo, s9
	s_delay_alu instid0(SALU_CYCLE_1)
	s_and_not1_b32 s2, s2, exec_lo
	s_and_b32 s8, s8, exec_lo
	s_and_not1_b32 s3, s3, exec_lo
	s_and_b32 s9, s10, exec_lo
	s_or_b32 s2, s2, s8
	s_or_b32 s3, s3, s9
                                        ; implicit-def: $vgpr13
.LBB3_194:
	s_or_b32 exec_lo, exec_lo, s5
	s_delay_alu instid0(SALU_CYCLE_1)
	s_and_b32 s2, s2, exec_lo
	s_and_b32 s3, s3, exec_lo
	;; [unrolled: 1-line block ×3, first 2 shown]
                                        ; implicit-def: $vgpr18
                                        ; implicit-def: $vgpr15
                                        ; implicit-def: $vgpr17
                                        ; implicit-def: $vgpr24
                                        ; implicit-def: $vgpr21
                                        ; implicit-def: $vgpr20
	s_and_not1_saveexec_b32 s1, s1
	s_cbranch_execz .LBB3_145
.LBB3_195:
	s_mov_b32 s8, -1
	s_mov_b32 s5, s4
	s_mov_b32 s10, s3
	;; [unrolled: 1-line block ×3, first 2 shown]
	s_mov_b32 s0, exec_lo
                                        ; implicit-def: $vgpr10
                                        ; implicit-def: $vgpr12
                                        ; implicit-def: $vgpr13
	v_cmpx_lt_i64_e32 5, v[0:1]
	s_cbranch_execz .LBB3_211
; %bb.196:
	s_mov_b32 s5, s4
	s_mov_b32 s8, exec_lo
                                        ; implicit-def: $vgpr13
	v_cmpx_lt_i64_e32 8, v[0:1]
	s_xor_b32 s8, exec_lo, s8
	s_cbranch_execz .LBB3_206
; %bb.197:
	s_mov_b32 s5, exec_lo
	v_cmpx_lt_i64_e32 9, v[0:1]
	s_xor_b32 s5, exec_lo, s5
	s_cbranch_execz .LBB3_203
; %bb.198:
	s_mov_b32 s9, exec_lo
	v_cmpx_lt_i64_e32 10, v[0:1]
	s_xor_b32 s9, exec_lo, s9
; %bb.199:
                                        ; implicit-def: $vgpr21
; %bb.200:
	s_delay_alu instid0(SALU_CYCLE_1)
	s_and_not1_saveexec_b32 s9, s9
; %bb.201:
	v_mov_b32_e32 v20, v21
; %bb.202:
	s_or_b32 exec_lo, exec_lo, s9
                                        ; implicit-def: $vgpr24
.LBB3_203:
	s_and_not1_saveexec_b32 s5, s5
; %bb.204:
	v_mov_b32_e32 v20, v24
; %bb.205:
	s_or_b32 exec_lo, exec_lo, s5
	s_delay_alu instid0(VALU_DEP_1)
	v_mov_b32_e32 v13, v20
	s_or_b32 s5, s4, exec_lo
                                        ; implicit-def: $vgpr18
                                        ; implicit-def: $vgpr15
                                        ; implicit-def: $vgpr17
.LBB3_206:
	s_or_saveexec_b32 s8, s8
	s_mov_b32 s11, s3
	s_mov_b32 s10, s2
                                        ; implicit-def: $vgpr10
                                        ; implicit-def: $vgpr12
	s_xor_b32 exec_lo, exec_lo, s8
	s_cbranch_execz .LBB3_210
; %bb.207:
	s_mov_b32 s10, -1
	s_mov_b32 s9, s5
	s_mov_b32 s11, s3
	s_mov_b32 s12, exec_lo
	v_cmpx_lt_i64_e32 6, v[0:1]
; %bb.208:
	v_cmp_lt_i64_e32 vcc_lo, 7, v[0:1]
	s_and_not1_b32 s9, s5, exec_lo
	s_xor_b32 s10, exec_lo, -1
	s_or_b32 s11, s3, exec_lo
                                        ; implicit-def: $vgpr18
	s_and_b32 s13, vcc_lo, exec_lo
	s_delay_alu instid0(SALU_CYCLE_1)
	s_or_b32 s9, s9, s13
; %bb.209:
	s_or_b32 exec_lo, exec_lo, s12
	s_delay_alu instid0(SALU_CYCLE_1)
	s_and_not1_b32 s12, s2, exec_lo
	s_and_b32 s10, s10, exec_lo
	v_dual_mov_b32 v10, v18 :: v_dual_mov_b32 v13, v17
	v_mov_b32_e32 v12, v15
	s_or_b32 s10, s12, s10
	s_and_not1_b32 s12, s3, exec_lo
	s_and_b32 s11, s11, exec_lo
	s_and_not1_b32 s5, s5, exec_lo
	s_and_b32 s9, s9, exec_lo
	s_or_b32 s11, s12, s11
	s_or_b32 s5, s5, s9
.LBB3_210:
	s_or_b32 exec_lo, exec_lo, s8
	s_delay_alu instid0(SALU_CYCLE_1)
	s_and_not1_b32 s9, s2, exec_lo
	s_and_b32 s10, s10, exec_lo
	s_and_b32 s11, s11, exec_lo
	s_or_b32 s9, s9, s10
	s_and_not1_b32 s10, s3, exec_lo
	s_and_not1_b32 s12, s4, exec_lo
	s_and_b32 s5, s5, exec_lo
	s_xor_b32 s8, exec_lo, -1
	s_or_b32 s10, s10, s11
	s_or_b32 s5, s12, s5
.LBB3_211:
	s_or_b32 exec_lo, exec_lo, s0
	s_delay_alu instid0(SALU_CYCLE_1)
	s_and_not1_b32 s2, s2, exec_lo
	s_and_b32 s9, s9, exec_lo
	s_and_b32 s0, s8, exec_lo
	s_and_not1_b32 s3, s3, exec_lo
	s_and_b32 s8, s10, exec_lo
	s_and_not1_b32 s4, s4, exec_lo
	s_and_b32 s5, s5, exec_lo
	s_or_b32 s2, s2, s9
	s_or_b32 s3, s3, s8
	;; [unrolled: 1-line block ×3, first 2 shown]
	s_or_b32 exec_lo, exec_lo, s1
	s_and_saveexec_b32 s1, s4
	s_cbranch_execz .LBB3_146
.LBB3_212:
	v_mov_b32_e32 v2, 0
	s_and_not1_b32 s3, s3, exec_lo
                                        ; implicit-def: $vgpr10
                                        ; implicit-def: $vgpr12
	global_store_b8 v2, v13, s[6:7]
	s_or_b32 exec_lo, exec_lo, s1
	s_and_saveexec_b32 s1, s3
	s_cbranch_execz .LBB3_147
.LBB3_213:
	v_mov_b32_e32 v2, 0
                                        ; implicit-def: $vgpr10
	global_store_b8 v2, v12, s[6:7]
	s_or_b32 exec_lo, exec_lo, s1
	s_and_saveexec_b32 s1, s2
	s_delay_alu instid0(SALU_CYCLE_1)
	s_xor_b32 s1, exec_lo, s1
	s_cbranch_execz .LBB3_148
.LBB3_214:
	v_mov_b32_e32 v2, 0
	global_store_b8 v2, v10, s[6:7]
	s_or_b32 exec_lo, exec_lo, s1
	s_delay_alu instid0(SALU_CYCLE_1)
	s_and_b32 exec_lo, exec_lo, s0
	s_cbranch_execz .LBB3_149
.LBB3_215:
	s_mov_b32 s0, exec_lo
	v_cmpx_lt_i64_e32 2, v[0:1]
	s_xor_b32 s0, exec_lo, s0
	s_cbranch_execz .LBB3_225
; %bb.216:
	s_mov_b32 s1, exec_lo
	v_cmpx_lt_i64_e32 3, v[0:1]
	s_xor_b32 s1, exec_lo, s1
	s_cbranch_execz .LBB3_222
; %bb.217:
	;; [unrolled: 5-line block ×3, first 2 shown]
	v_mov_b32_e32 v0, 0
                                        ; implicit-def: $vgpr6
	global_store_b8 v0, v9, s[6:7]
.LBB3_219:
	s_and_not1_saveexec_b32 s2, s2
	s_cbranch_execz .LBB3_221
; %bb.220:
	v_mov_b32_e32 v0, 0
	global_store_b8 v0, v6, s[6:7]
.LBB3_221:
	s_or_b32 exec_lo, exec_lo, s2
                                        ; implicit-def: $vgpr8
.LBB3_222:
	s_and_not1_saveexec_b32 s1, s1
	s_cbranch_execz .LBB3_224
; %bb.223:
	v_mov_b32_e32 v0, 0
	global_store_b8 v0, v8, s[6:7]
.LBB3_224:
	s_or_b32 exec_lo, exec_lo, s1
                                        ; implicit-def: $vgpr0_vgpr1
                                        ; implicit-def: $vgpr7
                                        ; implicit-def: $vgpr4
                                        ; implicit-def: $vgpr5
.LBB3_225:
	s_and_not1_saveexec_b32 s0, s0
	s_cbranch_execz .LBB3_149
; %bb.226:
	s_mov_b32 s0, exec_lo
	v_cmpx_lt_i64_e32 1, v[0:1]
	s_xor_b32 s0, exec_lo, s0
	s_cbranch_execz .LBB3_228
; %bb.227:
	v_mov_b32_e32 v0, 0
                                        ; implicit-def: $vgpr4
                                        ; implicit-def: $vgpr5
	global_store_b8 v0, v7, s[6:7]
                                        ; implicit-def: $vgpr0_vgpr1
.LBB3_228:
	s_and_not1_saveexec_b32 s0, s0
	s_cbranch_execz .LBB3_149
; %bb.229:
	s_mov_b32 s0, exec_lo
	v_cmpx_ne_u64_e32 1, v[0:1]
	s_xor_b32 s0, exec_lo, s0
	s_cbranch_execz .LBB3_231
; %bb.230:
	v_mov_b32_e32 v0, 0
                                        ; implicit-def: $vgpr4
	global_store_b8 v0, v5, s[6:7]
.LBB3_231:
	s_and_not1_saveexec_b32 s0, s0
	s_cbranch_execz .LBB3_149
; %bb.232:
	v_mov_b32_e32 v0, 0
	global_store_b8 v0, v4, s[6:7]
	s_nop 0
	s_sendmsg sendmsg(MSG_DEALLOC_VGPRS)
	s_endpgm
	.section	.rodata,"a",@progbits
	.p2align	6, 0x0
	.amdhsa_kernel _ZN7rocprim17ROCPRIM_304000_NS6detail20lookback_scan_kernelILNS1_25lookback_scan_determinismE0ELb0ENS1_19wrapped_scan_configINS0_14default_configEhEEPKhPhSt10multipliesIhEhhNS1_19lookback_scan_stateIhLb0ELb1EEEEEvT2_T3_mT5_T4_T7_jPT6_SK_bb
		.amdhsa_group_segment_fixed_size 6144
		.amdhsa_private_segment_fixed_size 0
		.amdhsa_kernarg_size 68
		.amdhsa_user_sgpr_count 15
		.amdhsa_user_sgpr_dispatch_ptr 0
		.amdhsa_user_sgpr_queue_ptr 0
		.amdhsa_user_sgpr_kernarg_segment_ptr 1
		.amdhsa_user_sgpr_dispatch_id 0
		.amdhsa_user_sgpr_private_segment_size 0
		.amdhsa_wavefront_size32 1
		.amdhsa_uses_dynamic_stack 0
		.amdhsa_enable_private_segment 0
		.amdhsa_system_sgpr_workgroup_id_x 1
		.amdhsa_system_sgpr_workgroup_id_y 0
		.amdhsa_system_sgpr_workgroup_id_z 0
		.amdhsa_system_sgpr_workgroup_info 0
		.amdhsa_system_vgpr_workitem_id 0
		.amdhsa_next_free_vgpr 53
		.amdhsa_next_free_sgpr 17
		.amdhsa_reserve_vcc 1
		.amdhsa_float_round_mode_32 0
		.amdhsa_float_round_mode_16_64 0
		.amdhsa_float_denorm_mode_32 3
		.amdhsa_float_denorm_mode_16_64 3
		.amdhsa_dx10_clamp 1
		.amdhsa_ieee_mode 1
		.amdhsa_fp16_overflow 0
		.amdhsa_workgroup_processor_mode 1
		.amdhsa_memory_ordered 1
		.amdhsa_forward_progress 0
		.amdhsa_shared_vgpr_count 0
		.amdhsa_exception_fp_ieee_invalid_op 0
		.amdhsa_exception_fp_denorm_src 0
		.amdhsa_exception_fp_ieee_div_zero 0
		.amdhsa_exception_fp_ieee_overflow 0
		.amdhsa_exception_fp_ieee_underflow 0
		.amdhsa_exception_fp_ieee_inexact 0
		.amdhsa_exception_int_div_zero 0
	.end_amdhsa_kernel
	.section	.text._ZN7rocprim17ROCPRIM_304000_NS6detail20lookback_scan_kernelILNS1_25lookback_scan_determinismE0ELb0ENS1_19wrapped_scan_configINS0_14default_configEhEEPKhPhSt10multipliesIhEhhNS1_19lookback_scan_stateIhLb0ELb1EEEEEvT2_T3_mT5_T4_T7_jPT6_SK_bb,"axG",@progbits,_ZN7rocprim17ROCPRIM_304000_NS6detail20lookback_scan_kernelILNS1_25lookback_scan_determinismE0ELb0ENS1_19wrapped_scan_configINS0_14default_configEhEEPKhPhSt10multipliesIhEhhNS1_19lookback_scan_stateIhLb0ELb1EEEEEvT2_T3_mT5_T4_T7_jPT6_SK_bb,comdat
.Lfunc_end3:
	.size	_ZN7rocprim17ROCPRIM_304000_NS6detail20lookback_scan_kernelILNS1_25lookback_scan_determinismE0ELb0ENS1_19wrapped_scan_configINS0_14default_configEhEEPKhPhSt10multipliesIhEhhNS1_19lookback_scan_stateIhLb0ELb1EEEEEvT2_T3_mT5_T4_T7_jPT6_SK_bb, .Lfunc_end3-_ZN7rocprim17ROCPRIM_304000_NS6detail20lookback_scan_kernelILNS1_25lookback_scan_determinismE0ELb0ENS1_19wrapped_scan_configINS0_14default_configEhEEPKhPhSt10multipliesIhEhhNS1_19lookback_scan_stateIhLb0ELb1EEEEEvT2_T3_mT5_T4_T7_jPT6_SK_bb
                                        ; -- End function
	.section	.AMDGPU.csdata,"",@progbits
; Kernel info:
; codeLenInByte = 9836
; NumSgprs: 19
; NumVgprs: 53
; ScratchSize: 0
; MemoryBound: 0
; FloatMode: 240
; IeeeMode: 1
; LDSByteSize: 6144 bytes/workgroup (compile time only)
; SGPRBlocks: 2
; VGPRBlocks: 6
; NumSGPRsForWavesPerEU: 19
; NumVGPRsForWavesPerEU: 53
; Occupancy: 16
; WaveLimiterHint : 1
; COMPUTE_PGM_RSRC2:SCRATCH_EN: 0
; COMPUTE_PGM_RSRC2:USER_SGPR: 15
; COMPUTE_PGM_RSRC2:TRAP_HANDLER: 0
; COMPUTE_PGM_RSRC2:TGID_X_EN: 1
; COMPUTE_PGM_RSRC2:TGID_Y_EN: 0
; COMPUTE_PGM_RSRC2:TGID_Z_EN: 0
; COMPUTE_PGM_RSRC2:TIDIG_COMP_CNT: 0
	.section	.text._ZN7rocprim17ROCPRIM_304000_NS6detail16transform_kernelINS1_24wrapped_transform_configINS0_14default_configEhEEhPhS6_NS0_8identityIhEEEEvT1_mT2_T3_,"axG",@progbits,_ZN7rocprim17ROCPRIM_304000_NS6detail16transform_kernelINS1_24wrapped_transform_configINS0_14default_configEhEEhPhS6_NS0_8identityIhEEEEvT1_mT2_T3_,comdat
	.protected	_ZN7rocprim17ROCPRIM_304000_NS6detail16transform_kernelINS1_24wrapped_transform_configINS0_14default_configEhEEhPhS6_NS0_8identityIhEEEEvT1_mT2_T3_ ; -- Begin function _ZN7rocprim17ROCPRIM_304000_NS6detail16transform_kernelINS1_24wrapped_transform_configINS0_14default_configEhEEhPhS6_NS0_8identityIhEEEEvT1_mT2_T3_
	.globl	_ZN7rocprim17ROCPRIM_304000_NS6detail16transform_kernelINS1_24wrapped_transform_configINS0_14default_configEhEEhPhS6_NS0_8identityIhEEEEvT1_mT2_T3_
	.p2align	8
	.type	_ZN7rocprim17ROCPRIM_304000_NS6detail16transform_kernelINS1_24wrapped_transform_configINS0_14default_configEhEEhPhS6_NS0_8identityIhEEEEvT1_mT2_T3_,@function
_ZN7rocprim17ROCPRIM_304000_NS6detail16transform_kernelINS1_24wrapped_transform_configINS0_14default_configEhEEhPhS6_NS0_8identityIhEEEEvT1_mT2_T3_: ; @_ZN7rocprim17ROCPRIM_304000_NS6detail16transform_kernelINS1_24wrapped_transform_configINS0_14default_configEhEEhPhS6_NS0_8identityIhEEEEvT1_mT2_T3_
; %bb.0:
	s_clause 0x2
	s_load_b32 s2, s[0:1], 0x20
	s_load_b128 s[4:7], s[0:1], 0x0
	s_load_b64 s[8:9], s[0:1], 0x10
	s_lshl_b32 s3, s15, 12
	s_waitcnt lgkmcnt(0)
	s_add_i32 s2, s2, -1
	s_add_u32 s0, s4, s3
	s_addc_u32 s1, s5, 0
	v_add_co_u32 v1, s0, s0, v0
	s_delay_alu instid0(VALU_DEP_1)
	v_add_co_ci_u32_e64 v2, null, s1, 0, s0
	s_mov_b32 s4, 0
	s_cmp_lg_u32 s15, s2
	s_mov_b32 s0, -1
	s_cbranch_scc0 .LBB4_2
; %bb.1:
	s_clause 0x3
	global_load_u8 v6, v[1:2], off
	global_load_u8 v7, v[1:2], off offset:1024
	global_load_u8 v8, v[1:2], off offset:2048
	;; [unrolled: 1-line block ×3, first 2 shown]
	s_add_u32 s0, s8, s3
	s_addc_u32 s1, s9, 0
	v_add_co_u32 v4, s0, s0, v0
	s_delay_alu instid0(VALU_DEP_1)
	v_add_co_ci_u32_e64 v5, null, s1, 0, s0
	s_mov_b32 s4, -1
	s_waitcnt vmcnt(3)
	global_store_b8 v[4:5], v6, off
	s_waitcnt vmcnt(2)
	global_store_b8 v[4:5], v7, off offset:1024
	s_waitcnt vmcnt(1)
	global_store_b8 v[4:5], v8, off offset:2048
	s_cbranch_execz .LBB4_3
	s_branch .LBB4_17
.LBB4_2:
                                        ; implicit-def: $vgpr3
	s_and_not1_b32 vcc_lo, exec_lo, s0
	s_cbranch_vccnz .LBB4_17
.LBB4_3:
	s_sub_i32 s2, s6, s3
                                        ; implicit-def: $vgpr4
	s_delay_alu instid0(SALU_CYCLE_1)
	v_cmp_gt_u32_e32 vcc_lo, s2, v0
	s_and_saveexec_b32 s0, vcc_lo
	s_cbranch_execz .LBB4_5
; %bb.4:
	global_load_u8 v4, v[1:2], off
.LBB4_5:
	s_or_b32 exec_lo, exec_lo, s0
	s_waitcnt vmcnt(0)
	v_or_b32_e32 v3, 0x400, v0
                                        ; implicit-def: $vgpr6
	s_delay_alu instid0(VALU_DEP_1) | instskip(NEXT) | instid1(VALU_DEP_1)
	v_cmp_gt_u32_e64 s0, s2, v3
	s_and_saveexec_b32 s1, s0
	s_cbranch_execz .LBB4_7
; %bb.6:
	global_load_u8 v6, v[1:2], off offset:1024
.LBB4_7:
	s_or_b32 exec_lo, exec_lo, s1
	v_or_b32_e32 v3, 0x800, v0
	s_delay_alu instid0(VALU_DEP_1) | instskip(NEXT) | instid1(VALU_DEP_1)
	v_cmp_gt_u32_e64 s1, s2, v3
                                        ; implicit-def: $vgpr3
	s_and_saveexec_b32 s5, s1
	s_cbranch_execz .LBB4_9
; %bb.8:
	global_load_u8 v3, v[1:2], off offset:2048
.LBB4_9:
	s_or_b32 exec_lo, exec_lo, s5
	v_or_b32_e32 v5, 0xc00, v0
	s_delay_alu instid0(VALU_DEP_1) | instskip(NEXT) | instid1(VALU_DEP_1)
	v_cmp_gt_u32_e64 s2, s2, v5
                                        ; implicit-def: $vgpr5
	s_and_saveexec_b32 s5, s2
	s_cbranch_execz .LBB4_11
; %bb.10:
	global_load_u8 v5, v[1:2], off offset:3072
.LBB4_11:
	s_or_b32 exec_lo, exec_lo, s5
	v_and_b32_e32 v1, 0xff, v4
	s_waitcnt vmcnt(0)
	v_lshlrev_b16 v2, 8, v6
	v_and_b32_e32 v4, 0xff, v3
	v_lshlrev_b16 v6, 8, v5
	s_add_u32 s5, s8, s3
	s_addc_u32 s6, s9, 0
	v_or_b32_e32 v1, v1, v2
	s_delay_alu instid0(VALU_DEP_2) | instskip(NEXT) | instid1(VALU_DEP_2)
	v_or_b32_e32 v2, v4, v6
	v_and_b32_e32 v1, 0xffff, v1
	s_delay_alu instid0(VALU_DEP_2) | instskip(NEXT) | instid1(VALU_DEP_1)
	v_lshlrev_b32_e32 v2, 16, v2
	v_or_b32_e32 v4, v1, v2
	v_add_co_u32 v1, s5, s5, v0
	s_delay_alu instid0(VALU_DEP_1)
	v_add_co_ci_u32_e64 v2, null, s6, 0, s5
	s_and_saveexec_b32 s5, vcc_lo
	s_cbranch_execnz .LBB4_20
; %bb.12:
	s_or_b32 exec_lo, exec_lo, s5
	s_and_saveexec_b32 s5, s0
	s_cbranch_execnz .LBB4_21
.LBB4_13:
	s_or_b32 exec_lo, exec_lo, s5
	v_perm_b32 v4, v4, v4, 0x7060104
	s_and_saveexec_b32 s0, s1
	s_cbranch_execnz .LBB4_22
.LBB4_14:
	s_or_b32 exec_lo, exec_lo, s0
                                        ; implicit-def: $vgpr3
	s_and_saveexec_b32 s0, s2
.LBB4_15:
	v_lshlrev_b32_e32 v1, 24, v5
	s_or_b32 s4, s4, exec_lo
	s_delay_alu instid0(VALU_DEP_1) | instskip(NEXT) | instid1(VALU_DEP_1)
	v_cndmask_b32_e64 v1, v4, v1, s2
	v_lshrrev_b32_e32 v3, 24, v1
.LBB4_16:
	s_or_b32 exec_lo, exec_lo, s0
.LBB4_17:
	s_and_saveexec_b32 s0, s4
	s_cbranch_execnz .LBB4_19
; %bb.18:
	s_nop 0
	s_sendmsg sendmsg(MSG_DEALLOC_VGPRS)
	s_endpgm
.LBB4_19:
	s_add_u32 s0, s8, s3
	s_addc_u32 s1, s9, 0
	v_add_co_u32 v0, s0, s0, v0
	s_delay_alu instid0(VALU_DEP_1)
	v_add_co_ci_u32_e64 v1, null, s1, 0, s0
	s_waitcnt vmcnt(0)
	global_store_b8 v[0:1], v3, off offset:3072
	s_nop 0
	s_sendmsg sendmsg(MSG_DEALLOC_VGPRS)
	s_endpgm
.LBB4_20:
	global_store_b8 v[1:2], v4, off
	s_or_b32 exec_lo, exec_lo, s5
	s_and_saveexec_b32 s5, s0
	s_cbranch_execz .LBB4_13
.LBB4_21:
	v_lshrrev_b32_e32 v6, 8, v4
	global_store_b8 v[1:2], v6, off offset:1024
	s_or_b32 exec_lo, exec_lo, s5
	v_perm_b32 v4, v4, v4, 0x7060104
	s_and_saveexec_b32 s0, s1
	s_cbranch_execz .LBB4_14
.LBB4_22:
	v_lshlrev_b32_e32 v3, 16, v3
	s_delay_alu instid0(VALU_DEP_1)
	v_cndmask_b32_e64 v3, v4, v3, s1
	global_store_d16_hi_b8 v[1:2], v3, off offset:2048
	s_or_b32 exec_lo, exec_lo, s0
                                        ; implicit-def: $vgpr3
	s_and_saveexec_b32 s0, s2
	s_cbranch_execnz .LBB4_15
	s_branch .LBB4_16
	.section	.rodata,"a",@progbits
	.p2align	6, 0x0
	.amdhsa_kernel _ZN7rocprim17ROCPRIM_304000_NS6detail16transform_kernelINS1_24wrapped_transform_configINS0_14default_configEhEEhPhS6_NS0_8identityIhEEEEvT1_mT2_T3_
		.amdhsa_group_segment_fixed_size 0
		.amdhsa_private_segment_fixed_size 0
		.amdhsa_kernarg_size 288
		.amdhsa_user_sgpr_count 15
		.amdhsa_user_sgpr_dispatch_ptr 0
		.amdhsa_user_sgpr_queue_ptr 0
		.amdhsa_user_sgpr_kernarg_segment_ptr 1
		.amdhsa_user_sgpr_dispatch_id 0
		.amdhsa_user_sgpr_private_segment_size 0
		.amdhsa_wavefront_size32 1
		.amdhsa_uses_dynamic_stack 0
		.amdhsa_enable_private_segment 0
		.amdhsa_system_sgpr_workgroup_id_x 1
		.amdhsa_system_sgpr_workgroup_id_y 0
		.amdhsa_system_sgpr_workgroup_id_z 0
		.amdhsa_system_sgpr_workgroup_info 0
		.amdhsa_system_vgpr_workitem_id 0
		.amdhsa_next_free_vgpr 9
		.amdhsa_next_free_sgpr 16
		.amdhsa_reserve_vcc 1
		.amdhsa_float_round_mode_32 0
		.amdhsa_float_round_mode_16_64 0
		.amdhsa_float_denorm_mode_32 3
		.amdhsa_float_denorm_mode_16_64 3
		.amdhsa_dx10_clamp 1
		.amdhsa_ieee_mode 1
		.amdhsa_fp16_overflow 0
		.amdhsa_workgroup_processor_mode 1
		.amdhsa_memory_ordered 1
		.amdhsa_forward_progress 0
		.amdhsa_shared_vgpr_count 0
		.amdhsa_exception_fp_ieee_invalid_op 0
		.amdhsa_exception_fp_denorm_src 0
		.amdhsa_exception_fp_ieee_div_zero 0
		.amdhsa_exception_fp_ieee_overflow 0
		.amdhsa_exception_fp_ieee_underflow 0
		.amdhsa_exception_fp_ieee_inexact 0
		.amdhsa_exception_int_div_zero 0
	.end_amdhsa_kernel
	.section	.text._ZN7rocprim17ROCPRIM_304000_NS6detail16transform_kernelINS1_24wrapped_transform_configINS0_14default_configEhEEhPhS6_NS0_8identityIhEEEEvT1_mT2_T3_,"axG",@progbits,_ZN7rocprim17ROCPRIM_304000_NS6detail16transform_kernelINS1_24wrapped_transform_configINS0_14default_configEhEEhPhS6_NS0_8identityIhEEEEvT1_mT2_T3_,comdat
.Lfunc_end4:
	.size	_ZN7rocprim17ROCPRIM_304000_NS6detail16transform_kernelINS1_24wrapped_transform_configINS0_14default_configEhEEhPhS6_NS0_8identityIhEEEEvT1_mT2_T3_, .Lfunc_end4-_ZN7rocprim17ROCPRIM_304000_NS6detail16transform_kernelINS1_24wrapped_transform_configINS0_14default_configEhEEhPhS6_NS0_8identityIhEEEEvT1_mT2_T3_
                                        ; -- End function
	.section	.AMDGPU.csdata,"",@progbits
; Kernel info:
; codeLenInByte = 704
; NumSgprs: 18
; NumVgprs: 9
; ScratchSize: 0
; MemoryBound: 0
; FloatMode: 240
; IeeeMode: 1
; LDSByteSize: 0 bytes/workgroup (compile time only)
; SGPRBlocks: 2
; VGPRBlocks: 1
; NumSGPRsForWavesPerEU: 18
; NumVGPRsForWavesPerEU: 9
; Occupancy: 16
; WaveLimiterHint : 1
; COMPUTE_PGM_RSRC2:SCRATCH_EN: 0
; COMPUTE_PGM_RSRC2:USER_SGPR: 15
; COMPUTE_PGM_RSRC2:TRAP_HANDLER: 0
; COMPUTE_PGM_RSRC2:TGID_X_EN: 1
; COMPUTE_PGM_RSRC2:TGID_Y_EN: 0
; COMPUTE_PGM_RSRC2:TGID_Z_EN: 0
; COMPUTE_PGM_RSRC2:TIDIG_COMP_CNT: 0
	.section	.text._ZN7rocprim17ROCPRIM_304000_NS6detail18single_scan_kernelILb0ENS1_19wrapped_scan_configINS0_14default_configEhEEPKhPhSt10multipliesIhEhhEEvT1_mT4_T2_T3_,"axG",@progbits,_ZN7rocprim17ROCPRIM_304000_NS6detail18single_scan_kernelILb0ENS1_19wrapped_scan_configINS0_14default_configEhEEPKhPhSt10multipliesIhEhhEEvT1_mT4_T2_T3_,comdat
	.protected	_ZN7rocprim17ROCPRIM_304000_NS6detail18single_scan_kernelILb0ENS1_19wrapped_scan_configINS0_14default_configEhEEPKhPhSt10multipliesIhEhhEEvT1_mT4_T2_T3_ ; -- Begin function _ZN7rocprim17ROCPRIM_304000_NS6detail18single_scan_kernelILb0ENS1_19wrapped_scan_configINS0_14default_configEhEEPKhPhSt10multipliesIhEhhEEvT1_mT4_T2_T3_
	.globl	_ZN7rocprim17ROCPRIM_304000_NS6detail18single_scan_kernelILb0ENS1_19wrapped_scan_configINS0_14default_configEhEEPKhPhSt10multipliesIhEhhEEvT1_mT4_T2_T3_
	.p2align	8
	.type	_ZN7rocprim17ROCPRIM_304000_NS6detail18single_scan_kernelILb0ENS1_19wrapped_scan_configINS0_14default_configEhEEPKhPhSt10multipliesIhEhhEEvT1_mT4_T2_T3_,@function
_ZN7rocprim17ROCPRIM_304000_NS6detail18single_scan_kernelILb0ENS1_19wrapped_scan_configINS0_14default_configEhEEPKhPhSt10multipliesIhEhhEEvT1_mT4_T2_T3_: ; @_ZN7rocprim17ROCPRIM_304000_NS6detail18single_scan_kernelILb0ENS1_19wrapped_scan_configINS0_14default_configEhEEPKhPhSt10multipliesIhEhhEEvT1_mT4_T2_T3_
; %bb.0:
	s_load_b128 s[24:27], s[0:1], 0x0
	v_mov_b32_e32 v1, 0
	s_waitcnt lgkmcnt(0)
	global_load_u8 v3, v1, s[24:25]
	v_add_co_u32 v1, s2, s24, v0
	s_delay_alu instid0(VALU_DEP_1)
	v_add_co_ci_u32_e64 v2, null, s25, 0, s2
	v_cmp_gt_u32_e32 vcc_lo, s26, v0
	s_waitcnt vmcnt(0)
	v_mov_b32_e32 v4, v3
	s_and_saveexec_b32 s2, vcc_lo
	s_cbranch_execz .LBB5_2
; %bb.1:
	global_load_u8 v4, v[1:2], off
.LBB5_2:
	s_or_b32 exec_lo, exec_lo, s2
	v_or_b32_e32 v5, 0x100, v0
	s_delay_alu instid0(VALU_DEP_1) | instskip(SKIP_1) | instid1(VALU_DEP_2)
	v_cmp_gt_u32_e64 s2, s26, v5
	v_mov_b32_e32 v5, v3
	s_and_saveexec_b32 s3, s2
	s_cbranch_execz .LBB5_4
; %bb.3:
	global_load_u8 v5, v[1:2], off offset:256
.LBB5_4:
	s_or_b32 exec_lo, exec_lo, s3
	v_or_b32_e32 v6, 0x200, v0
	s_delay_alu instid0(VALU_DEP_1) | instskip(SKIP_1) | instid1(VALU_DEP_2)
	v_cmp_gt_u32_e64 s3, s26, v6
	v_mov_b32_e32 v6, v3
	s_and_saveexec_b32 s4, s3
	s_cbranch_execz .LBB5_6
; %bb.5:
	global_load_u8 v6, v[1:2], off offset:512
.LBB5_6:
	;; [unrolled: 10-line block ×15, first 2 shown]
	s_or_b32 exec_lo, exec_lo, s17
	v_or_b32_e32 v20, 0x1000, v0
	s_delay_alu instid0(VALU_DEP_1) | instskip(SKIP_1) | instid1(VALU_DEP_2)
	v_cmp_gt_u32_e64 s17, s26, v20
	v_mov_b32_e32 v20, v3
	s_and_saveexec_b32 s19, s17
	s_cbranch_execz .LBB5_34
; %bb.33:
	v_add_co_u32 v20, s18, 0x1000, v1
	s_delay_alu instid0(VALU_DEP_1)
	v_add_co_ci_u32_e64 v21, s18, 0, v2, s18
	global_load_u8 v20, v[20:21], off
.LBB5_34:
	s_or_b32 exec_lo, exec_lo, s19
	v_or_b32_e32 v21, 0x1100, v0
	s_delay_alu instid0(VALU_DEP_1) | instskip(SKIP_1) | instid1(VALU_DEP_2)
	v_cmp_gt_u32_e64 s18, s26, v21
	v_mov_b32_e32 v21, v3
	s_and_saveexec_b32 s20, s18
	s_cbranch_execz .LBB5_36
; %bb.35:
	v_add_co_u32 v21, s19, 0x1000, v1
	s_delay_alu instid0(VALU_DEP_1)
	v_add_co_ci_u32_e64 v22, s19, 0, v2, s19
	global_load_u8 v21, v[21:22], off offset:256
.LBB5_36:
	s_or_b32 exec_lo, exec_lo, s20
	v_or_b32_e32 v22, 0x1200, v0
	s_delay_alu instid0(VALU_DEP_1) | instskip(SKIP_1) | instid1(VALU_DEP_2)
	v_cmp_gt_u32_e64 s19, s26, v22
	v_mov_b32_e32 v22, v3
	s_and_saveexec_b32 s21, s19
	s_cbranch_execz .LBB5_38
; %bb.37:
	v_add_co_u32 v22, s20, 0x1000, v1
	s_delay_alu instid0(VALU_DEP_1)
	v_add_co_ci_u32_e64 v23, s20, 0, v2, s20
	global_load_u8 v22, v[22:23], off offset:512
.LBB5_38:
	;; [unrolled: 13-line block ×6, first 2 shown]
	s_or_b32 exec_lo, exec_lo, s25
	v_or_b32_e32 v27, 0x1700, v0
	s_delay_alu instid0(VALU_DEP_1) | instskip(NEXT) | instid1(VALU_DEP_1)
	v_cmp_gt_u32_e64 s24, s26, v27
	s_and_saveexec_b32 s26, s24
	s_cbranch_execz .LBB5_48
; %bb.47:
	v_add_co_u32 v1, s25, 0x1000, v1
	s_delay_alu instid0(VALU_DEP_1)
	v_add_co_ci_u32_e64 v2, s25, 0, v2, s25
	global_load_u8 v3, v[1:2], off offset:1792
.LBB5_48:
	s_or_b32 exec_lo, exec_lo, s26
	s_waitcnt vmcnt(0)
	ds_store_b8 v0, v4
	ds_store_b8 v0, v5 offset:256
	ds_store_b8 v0, v6 offset:512
	;; [unrolled: 1-line block ×15, first 2 shown]
	v_mad_u32_u24 v5, v0, 23, v0
	ds_store_b8 v0, v20 offset:4096
	ds_store_b8 v0, v21 offset:4352
	;; [unrolled: 1-line block ×8, first 2 shown]
	s_waitcnt lgkmcnt(0)
	s_barrier
	buffer_gl0_inv
	ds_load_2addr_b64 v[1:4], v5 offset1:1
	ds_load_b64 v[5:6], v5 offset:16
	s_mov_b32 s26, exec_lo
	s_waitcnt lgkmcnt(0)
	s_barrier
	buffer_gl0_inv
	v_lshrrev_b32_e32 v14, 8, v1
	v_lshrrev_b32_e32 v15, 16, v1
	;; [unrolled: 1-line block ×5, first 2 shown]
	v_mul_lo_u16 v7, v14, v1
	v_lshrrev_b32_e32 v20, 24, v2
	v_lshrrev_b32_e32 v21, 8, v3
	v_lshrrev_b32_e32 v22, 16, v3
	v_lshrrev_b32_e32 v23, 24, v3
	v_mul_lo_u16 v7, v7, v15
	v_lshrrev_b32_e32 v24, 8, v4
	v_lshrrev_b32_e32 v16, 16, v4
	v_lshrrev_b32_e32 v13, 24, v4
	v_lshrrev_b32_e32 v12, 8, v5
	;; [unrolled: 5-line block ×3, first 2 shown]
	v_mul_lo_u16 v7, v7, v2
	s_delay_alu instid0(VALU_DEP_1) | instskip(NEXT) | instid1(VALU_DEP_1)
	v_mul_lo_u16 v7, v7, v18
	v_mul_lo_u16 v7, v7, v19
	s_delay_alu instid0(VALU_DEP_1) | instskip(NEXT) | instid1(VALU_DEP_1)
	v_mul_lo_u16 v7, v7, v20
	;; [unrolled: 3-line block ×8, first 2 shown]
	v_mul_lo_u16 v7, v7, v6
	s_delay_alu instid0(VALU_DEP_1) | instskip(SKIP_1) | instid1(VALU_DEP_2)
	v_mul_lo_u16 v25, v7, v9
	v_lshrrev_b32_e32 v7, 24, v6
	v_mul_lo_u16 v25, v25, v8
	s_delay_alu instid0(VALU_DEP_1) | instskip(SKIP_1) | instid1(VALU_DEP_2)
	v_mul_lo_u16 v26, v25, v7
	v_mbcnt_lo_u32_b32 v25, -1, 0
	v_and_b32_e32 v27, 0xff, v26
	s_delay_alu instid0(VALU_DEP_2) | instskip(NEXT) | instid1(VALU_DEP_2)
	v_and_b32_e32 v29, 15, v25
	v_mov_b32_dpp v28, v27 row_shr:1 row_mask:0xf bank_mask:0xf
	s_delay_alu instid0(VALU_DEP_2) | instskip(NEXT) | instid1(VALU_DEP_2)
	v_cmp_eq_u32_e64 s25, 0, v29
	v_mul_lo_u16 v28, v26, v28
	s_delay_alu instid0(VALU_DEP_1) | instskip(NEXT) | instid1(VALU_DEP_3)
	v_and_b32_e32 v30, 0xff, v28
	v_cndmask_b32_e64 v26, v28, v26, s25
	s_delay_alu instid0(VALU_DEP_2) | instskip(SKIP_1) | instid1(VALU_DEP_2)
	v_cndmask_b32_e64 v27, v30, v27, s25
	v_cmp_lt_u32_e64 s25, 1, v29
	v_mov_b32_dpp v28, v27 row_shr:2 row_mask:0xf bank_mask:0xf
	s_delay_alu instid0(VALU_DEP_1) | instskip(NEXT) | instid1(VALU_DEP_1)
	v_mul_lo_u16 v28, v26, v28
	v_and_b32_e32 v30, 0xff, v28
	s_delay_alu instid0(VALU_DEP_4) | instskip(NEXT) | instid1(VALU_DEP_2)
	v_cndmask_b32_e64 v26, v26, v28, s25
	v_cndmask_b32_e64 v27, v27, v30, s25
	v_cmp_lt_u32_e64 s25, 3, v29
	s_delay_alu instid0(VALU_DEP_2) | instskip(NEXT) | instid1(VALU_DEP_1)
	v_mov_b32_dpp v28, v27 row_shr:4 row_mask:0xf bank_mask:0xf
	v_mul_lo_u16 v28, v26, v28
	s_delay_alu instid0(VALU_DEP_1) | instskip(NEXT) | instid1(VALU_DEP_4)
	v_and_b32_e32 v30, 0xff, v28
	v_cndmask_b32_e64 v26, v26, v28, s25
	s_delay_alu instid0(VALU_DEP_2) | instskip(SKIP_2) | instid1(VALU_DEP_3)
	v_cndmask_b32_e64 v27, v27, v30, s25
	v_cmp_lt_u32_e64 s25, 7, v29
	v_and_b32_e32 v29, 16, v25
	v_mov_b32_dpp v28, v27 row_shr:8 row_mask:0xf bank_mask:0xf
	s_delay_alu instid0(VALU_DEP_1) | instskip(NEXT) | instid1(VALU_DEP_1)
	v_mul_lo_u16 v28, v26, v28
	v_and_b32_e32 v30, 0xff, v28
	v_cndmask_b32_e64 v26, v26, v28, s25
	v_lshrrev_b32_e32 v28, 5, v0
	s_delay_alu instid0(VALU_DEP_3)
	v_cndmask_b32_e64 v27, v27, v30, s25
	v_cmp_ne_u32_e64 s25, 0, v29
	v_or_b32_e32 v29, 31, v0
	ds_swizzle_b32 v27, v27 offset:swizzle(BROADCAST,32,15)
	s_waitcnt lgkmcnt(0)
	v_cndmask_b32_e64 v27, 1, v27, s25
	s_delay_alu instid0(VALU_DEP_1)
	v_mul_lo_u16 v27, v26, v27
	v_cmpx_eq_u32_e64 v29, v0
	s_cbranch_execz .LBB5_50
; %bb.49:
	ds_store_b8 v28, v27
.LBB5_50:
	s_or_b32 exec_lo, exec_lo, s26
	s_delay_alu instid0(SALU_CYCLE_1)
	s_mov_b32 s26, exec_lo
	s_waitcnt lgkmcnt(0)
	s_barrier
	buffer_gl0_inv
	v_cmpx_gt_u32_e32 8, v0
	s_cbranch_execz .LBB5_52
; %bb.51:
	ds_load_u8 v26, v0
	v_and_b32_e32 v31, 7, v25
	s_delay_alu instid0(VALU_DEP_1) | instskip(SKIP_2) | instid1(VALU_DEP_1)
	v_cmp_eq_u32_e64 s25, 0, v31
	s_waitcnt lgkmcnt(0)
	v_and_b32_e32 v29, 0xff, v26
	v_mov_b32_dpp v30, v29 row_shr:1 row_mask:0xf bank_mask:0xf
	s_delay_alu instid0(VALU_DEP_1) | instskip(NEXT) | instid1(VALU_DEP_1)
	v_mul_lo_u16 v30, v26, v30
	v_and_b32_e32 v32, 0xff, v30
	v_cndmask_b32_e64 v26, v30, v26, s25
	s_delay_alu instid0(VALU_DEP_2) | instskip(SKIP_1) | instid1(VALU_DEP_2)
	v_cndmask_b32_e64 v29, v32, v29, s25
	v_cmp_lt_u32_e64 s25, 1, v31
	v_mov_b32_dpp v30, v29 row_shr:2 row_mask:0xf bank_mask:0xf
	s_delay_alu instid0(VALU_DEP_1) | instskip(NEXT) | instid1(VALU_DEP_1)
	v_mul_lo_u16 v30, v26, v30
	v_and_b32_e32 v32, 0xff, v30
	s_delay_alu instid0(VALU_DEP_4) | instskip(NEXT) | instid1(VALU_DEP_2)
	v_cndmask_b32_e64 v26, v26, v30, s25
	v_cndmask_b32_e64 v29, v29, v32, s25
	v_cmp_lt_u32_e64 s25, 3, v31
	s_delay_alu instid0(VALU_DEP_2) | instskip(NEXT) | instid1(VALU_DEP_1)
	v_mov_b32_dpp v29, v29 row_shr:4 row_mask:0xf bank_mask:0xf
	v_cndmask_b32_e64 v29, 1, v29, s25
	s_delay_alu instid0(VALU_DEP_1)
	v_mul_lo_u16 v26, v26, v29
	ds_store_b8 v0, v26
.LBB5_52:
	s_or_b32 exec_lo, exec_lo, s26
	v_mul_u32_u24_e32 v26, 23, v0
	s_mov_b32 s26, exec_lo
	s_waitcnt lgkmcnt(0)
	s_barrier
	buffer_gl0_inv
                                        ; implicit-def: $vgpr29
	v_cmpx_lt_u32_e32 31, v0
	s_cbranch_execz .LBB5_54
; %bb.53:
	v_add_nc_u32_e32 v28, -1, v28
	ds_load_u8 v29, v28
	s_waitcnt lgkmcnt(0)
	v_mul_lo_u16 v27, v29, v27
.LBB5_54:
	s_or_b32 exec_lo, exec_lo, s26
	v_add_nc_u32_e32 v28, -1, v25
	s_delay_alu instid0(VALU_DEP_2) | instskip(SKIP_4) | instid1(VALU_DEP_1)
	v_and_b32_e32 v27, 0xff, v27
	s_barrier
	buffer_gl0_inv
	v_cmp_gt_i32_e64 s25, 0, v28
	s_load_b64 s[0:1], s[0:1], 0x18
	v_cndmask_b32_e64 v28, v28, v25, s25
	v_cmp_eq_u32_e64 s25, 0, v25
	s_delay_alu instid0(VALU_DEP_2) | instskip(SKIP_4) | instid1(VALU_DEP_1)
	v_lshlrev_b32_e32 v28, 2, v28
	ds_bpermute_b32 v27, v28, v27
	s_waitcnt lgkmcnt(0)
	v_cndmask_b32_e64 v25, v27, v29, s25
	v_cmp_ne_u32_e64 s25, 0, v0
	v_cndmask_b32_e64 v25, 1, v25, s25
	s_delay_alu instid0(VALU_DEP_1) | instskip(NEXT) | instid1(VALU_DEP_1)
	v_mul_lo_u16 v1, v25, v1
	v_mul_lo_u16 v14, v1, v14
	v_and_b32_e32 v1, 0xff, v1
	s_delay_alu instid0(VALU_DEP_2) | instskip(SKIP_1) | instid1(VALU_DEP_2)
	v_mul_lo_u16 v15, v14, v15
	v_lshlrev_b16 v14, 8, v14
	v_mul_lo_u16 v17, v15, v17
	v_and_b32_e32 v15, 0xff, v15
	s_delay_alu instid0(VALU_DEP_3) | instskip(NEXT) | instid1(VALU_DEP_3)
	v_or_b32_e32 v1, v1, v14
	v_mul_lo_u16 v2, v17, v2
	v_lshlrev_b16 v17, 8, v17
	s_delay_alu instid0(VALU_DEP_3) | instskip(NEXT) | instid1(VALU_DEP_3)
	v_and_b32_e32 v1, 0xffff, v1
	v_mul_lo_u16 v18, v2, v18
	s_delay_alu instid0(VALU_DEP_3) | instskip(SKIP_1) | instid1(VALU_DEP_3)
	v_or_b32_e32 v14, v15, v17
	v_and_b32_e32 v2, 0xff, v2
	v_mul_lo_u16 v19, v18, v19
	v_lshlrev_b16 v15, 8, v18
	s_delay_alu instid0(VALU_DEP_4) | instskip(SKIP_1) | instid1(VALU_DEP_4)
	v_lshlrev_b32_e32 v14, 16, v14
	v_add_nc_u32_e32 v18, v0, v26
	v_mul_lo_u16 v20, v19, v20
	s_delay_alu instid0(VALU_DEP_4) | instskip(SKIP_2) | instid1(VALU_DEP_4)
	v_or_b32_e32 v2, v2, v15
	v_and_b32_e32 v15, 0xff, v19
	v_or_b32_e32 v1, v1, v14
	v_mul_lo_u16 v3, v20, v3
	v_lshlrev_b16 v17, 8, v20
	v_and_b32_e32 v2, 0xffff, v2
	s_delay_alu instid0(VALU_DEP_3) | instskip(NEXT) | instid1(VALU_DEP_3)
	v_mul_lo_u16 v21, v3, v21
	v_or_b32_e32 v14, v15, v17
	v_and_b32_e32 v3, 0xff, v3
	s_delay_alu instid0(VALU_DEP_3) | instskip(SKIP_1) | instid1(VALU_DEP_4)
	v_mul_lo_u16 v22, v21, v22
	v_lshlrev_b16 v15, 8, v21
	v_lshlrev_b32_e32 v14, 16, v14
	s_delay_alu instid0(VALU_DEP_3) | instskip(SKIP_1) | instid1(VALU_DEP_4)
	v_mul_lo_u16 v23, v22, v23
	v_and_b32_e32 v17, 0xff, v22
	v_or_b32_e32 v3, v3, v15
	s_delay_alu instid0(VALU_DEP_4) | instskip(NEXT) | instid1(VALU_DEP_4)
	v_or_b32_e32 v2, v2, v14
	v_mul_lo_u16 v4, v23, v4
	v_lshlrev_b16 v19, 8, v23
	s_delay_alu instid0(VALU_DEP_4) | instskip(NEXT) | instid1(VALU_DEP_3)
	v_and_b32_e32 v3, 0xffff, v3
	v_mul_lo_u16 v24, v4, v24
	v_and_b32_e32 v4, 0xff, v4
	s_delay_alu instid0(VALU_DEP_4) | instskip(NEXT) | instid1(VALU_DEP_3)
	v_or_b32_e32 v15, v17, v19
	v_mul_lo_u16 v16, v24, v16
	v_lshlrev_b16 v20, 8, v24
	s_delay_alu instid0(VALU_DEP_3) | instskip(NEXT) | instid1(VALU_DEP_3)
	v_lshlrev_b32_e32 v15, 16, v15
	v_mul_lo_u16 v13, v16, v13
	v_and_b32_e32 v16, 0xff, v16
	s_delay_alu instid0(VALU_DEP_4) | instskip(NEXT) | instid1(VALU_DEP_4)
	v_or_b32_e32 v4, v4, v20
	v_or_b32_e32 v3, v3, v15
	s_delay_alu instid0(VALU_DEP_4) | instskip(SKIP_1) | instid1(VALU_DEP_4)
	v_mul_lo_u16 v5, v13, v5
	v_lshlrev_b16 v13, 8, v13
	v_and_b32_e32 v4, 0xffff, v4
	s_delay_alu instid0(VALU_DEP_3) | instskip(SKIP_1) | instid1(VALU_DEP_4)
	v_mul_lo_u16 v12, v5, v12
	v_and_b32_e32 v5, 0xff, v5
	v_or_b32_e32 v13, v16, v13
	s_delay_alu instid0(VALU_DEP_3) | instskip(SKIP_1) | instid1(VALU_DEP_2)
	v_mul_lo_u16 v11, v12, v11
	v_lshlrev_b16 v12, 8, v12
	v_mul_lo_u16 v10, v11, v10
	v_and_b32_e32 v11, 0xff, v11
	s_delay_alu instid0(VALU_DEP_3) | instskip(NEXT) | instid1(VALU_DEP_3)
	v_or_b32_e32 v5, v5, v12
	v_mul_lo_u16 v6, v10, v6
	v_lshlrev_b16 v10, 8, v10
	s_delay_alu instid0(VALU_DEP_3) | instskip(NEXT) | instid1(VALU_DEP_3)
	v_and_b32_e32 v5, 0xffff, v5
	v_mul_lo_u16 v9, v6, v9
	v_and_b32_e32 v6, 0xff, v6
	s_delay_alu instid0(VALU_DEP_4) | instskip(NEXT) | instid1(VALU_DEP_3)
	v_or_b32_e32 v10, v11, v10
	v_mul_lo_u16 v8, v9, v8
	v_lshlrev_b16 v9, 8, v9
	s_delay_alu instid0(VALU_DEP_2) | instskip(SKIP_1) | instid1(VALU_DEP_3)
	v_mul_lo_u16 v7, v8, v7
	v_and_b32_e32 v8, 0xff, v8
	v_or_b32_e32 v6, v6, v9
	v_lshlrev_b32_e32 v9, 16, v10
	s_delay_alu instid0(VALU_DEP_4) | instskip(NEXT) | instid1(VALU_DEP_3)
	v_lshlrev_b16 v7, 8, v7
	v_and_b32_e32 v6, 0xffff, v6
	s_delay_alu instid0(VALU_DEP_3) | instskip(NEXT) | instid1(VALU_DEP_3)
	v_or_b32_e32 v5, v5, v9
	v_or_b32_e32 v7, v8, v7
	v_lshlrev_b32_e32 v8, 16, v13
	s_delay_alu instid0(VALU_DEP_2) | instskip(NEXT) | instid1(VALU_DEP_2)
	v_lshlrev_b32_e32 v7, 16, v7
	v_or_b32_e32 v4, v4, v8
	s_delay_alu instid0(VALU_DEP_2)
	v_or_b32_e32 v6, v6, v7
	ds_store_2addr_b64 v18, v[1:2], v[3:4] offset1:1
	ds_store_b64 v18, v[5:6] offset:16
	s_waitcnt lgkmcnt(0)
	s_barrier
	buffer_gl0_inv
	ds_load_u8 v25, v0 offset:256
	ds_load_u8 v24, v0 offset:512
	;; [unrolled: 1-line block ×23, first 2 shown]
	v_add_co_u32 v1, s0, s0, v0
	s_delay_alu instid0(VALU_DEP_1)
	v_add_co_ci_u32_e64 v2, null, s1, 0, s0
	s_and_saveexec_b32 s0, vcc_lo
	s_cbranch_execnz .LBB5_79
; %bb.55:
	s_or_b32 exec_lo, exec_lo, s0
	s_and_saveexec_b32 s0, s2
	s_cbranch_execnz .LBB5_80
.LBB5_56:
	s_or_b32 exec_lo, exec_lo, s0
	s_and_saveexec_b32 s0, s3
	s_cbranch_execnz .LBB5_81
.LBB5_57:
	s_or_b32 exec_lo, exec_lo, s0
	s_and_saveexec_b32 s0, s4
	s_cbranch_execnz .LBB5_82
.LBB5_58:
	s_or_b32 exec_lo, exec_lo, s0
	s_and_saveexec_b32 s0, s5
	s_cbranch_execnz .LBB5_83
.LBB5_59:
	s_or_b32 exec_lo, exec_lo, s0
	s_and_saveexec_b32 s0, s6
	s_cbranch_execnz .LBB5_84
.LBB5_60:
	s_or_b32 exec_lo, exec_lo, s0
	s_and_saveexec_b32 s0, s7
	s_cbranch_execnz .LBB5_85
.LBB5_61:
	s_or_b32 exec_lo, exec_lo, s0
	s_and_saveexec_b32 s0, s8
	s_cbranch_execnz .LBB5_86
.LBB5_62:
	s_or_b32 exec_lo, exec_lo, s0
	s_and_saveexec_b32 s0, s9
	s_cbranch_execnz .LBB5_87
.LBB5_63:
	s_or_b32 exec_lo, exec_lo, s0
	s_and_saveexec_b32 s0, s10
	s_cbranch_execnz .LBB5_88
.LBB5_64:
	s_or_b32 exec_lo, exec_lo, s0
	s_and_saveexec_b32 s0, s11
	s_cbranch_execnz .LBB5_89
.LBB5_65:
	s_or_b32 exec_lo, exec_lo, s0
	s_and_saveexec_b32 s0, s12
	s_cbranch_execnz .LBB5_90
.LBB5_66:
	s_or_b32 exec_lo, exec_lo, s0
	s_and_saveexec_b32 s0, s13
	s_cbranch_execnz .LBB5_91
.LBB5_67:
	s_or_b32 exec_lo, exec_lo, s0
	s_and_saveexec_b32 s0, s14
	s_cbranch_execnz .LBB5_92
.LBB5_68:
	s_or_b32 exec_lo, exec_lo, s0
	s_and_saveexec_b32 s0, s15
	s_cbranch_execnz .LBB5_93
.LBB5_69:
	s_or_b32 exec_lo, exec_lo, s0
	s_and_saveexec_b32 s0, s16
	s_cbranch_execnz .LBB5_94
.LBB5_70:
	s_or_b32 exec_lo, exec_lo, s0
	s_and_saveexec_b32 s0, s17
	s_cbranch_execnz .LBB5_95
.LBB5_71:
	s_or_b32 exec_lo, exec_lo, s0
	s_and_saveexec_b32 s0, s18
	s_cbranch_execnz .LBB5_96
.LBB5_72:
	s_or_b32 exec_lo, exec_lo, s0
	s_and_saveexec_b32 s0, s19
	s_cbranch_execnz .LBB5_97
.LBB5_73:
	s_or_b32 exec_lo, exec_lo, s0
	s_and_saveexec_b32 s0, s20
	s_cbranch_execnz .LBB5_98
.LBB5_74:
	s_or_b32 exec_lo, exec_lo, s0
	s_and_saveexec_b32 s0, s21
	s_cbranch_execnz .LBB5_99
.LBB5_75:
	s_or_b32 exec_lo, exec_lo, s0
	s_and_saveexec_b32 s0, s22
	s_cbranch_execnz .LBB5_100
.LBB5_76:
	s_or_b32 exec_lo, exec_lo, s0
	s_and_saveexec_b32 s0, s23
	s_cbranch_execnz .LBB5_101
.LBB5_77:
	s_or_b32 exec_lo, exec_lo, s0
	s_and_saveexec_b32 s0, s24
	s_cbranch_execnz .LBB5_102
.LBB5_78:
	s_nop 0
	s_sendmsg sendmsg(MSG_DEALLOC_VGPRS)
	s_endpgm
.LBB5_79:
	ds_load_u8 v0, v0
	s_waitcnt lgkmcnt(0)
	global_store_b8 v[1:2], v0, off
	s_or_b32 exec_lo, exec_lo, s0
	s_and_saveexec_b32 s0, s2
	s_cbranch_execz .LBB5_56
.LBB5_80:
	s_waitcnt lgkmcnt(22)
	global_store_b8 v[1:2], v25, off offset:256
	s_or_b32 exec_lo, exec_lo, s0
	s_and_saveexec_b32 s0, s3
	s_cbranch_execz .LBB5_57
.LBB5_81:
	s_waitcnt lgkmcnt(21)
	global_store_b8 v[1:2], v24, off offset:512
	s_or_b32 exec_lo, exec_lo, s0
	s_and_saveexec_b32 s0, s4
	s_cbranch_execz .LBB5_58
.LBB5_82:
	s_waitcnt lgkmcnt(20)
	global_store_b8 v[1:2], v23, off offset:768
	s_or_b32 exec_lo, exec_lo, s0
	s_and_saveexec_b32 s0, s5
	s_cbranch_execz .LBB5_59
.LBB5_83:
	s_waitcnt lgkmcnt(19)
	global_store_b8 v[1:2], v22, off offset:1024
	s_or_b32 exec_lo, exec_lo, s0
	s_and_saveexec_b32 s0, s6
	s_cbranch_execz .LBB5_60
.LBB5_84:
	s_waitcnt lgkmcnt(18)
	global_store_b8 v[1:2], v21, off offset:1280
	s_or_b32 exec_lo, exec_lo, s0
	s_and_saveexec_b32 s0, s7
	s_cbranch_execz .LBB5_61
.LBB5_85:
	s_waitcnt lgkmcnt(17)
	global_store_b8 v[1:2], v20, off offset:1536
	s_or_b32 exec_lo, exec_lo, s0
	s_and_saveexec_b32 s0, s8
	s_cbranch_execz .LBB5_62
.LBB5_86:
	s_waitcnt lgkmcnt(16)
	global_store_b8 v[1:2], v19, off offset:1792
	s_or_b32 exec_lo, exec_lo, s0
	s_and_saveexec_b32 s0, s9
	s_cbranch_execz .LBB5_63
.LBB5_87:
	s_waitcnt lgkmcnt(15)
	global_store_b8 v[1:2], v18, off offset:2048
	s_or_b32 exec_lo, exec_lo, s0
	s_and_saveexec_b32 s0, s10
	s_cbranch_execz .LBB5_64
.LBB5_88:
	s_waitcnt lgkmcnt(14)
	global_store_b8 v[1:2], v17, off offset:2304
	s_or_b32 exec_lo, exec_lo, s0
	s_and_saveexec_b32 s0, s11
	s_cbranch_execz .LBB5_65
.LBB5_89:
	s_waitcnt lgkmcnt(13)
	global_store_b8 v[1:2], v16, off offset:2560
	s_or_b32 exec_lo, exec_lo, s0
	s_and_saveexec_b32 s0, s12
	s_cbranch_execz .LBB5_66
.LBB5_90:
	s_waitcnt lgkmcnt(12)
	global_store_b8 v[1:2], v15, off offset:2816
	s_or_b32 exec_lo, exec_lo, s0
	s_and_saveexec_b32 s0, s13
	s_cbranch_execz .LBB5_67
.LBB5_91:
	s_waitcnt lgkmcnt(11)
	global_store_b8 v[1:2], v14, off offset:3072
	s_or_b32 exec_lo, exec_lo, s0
	s_and_saveexec_b32 s0, s14
	s_cbranch_execz .LBB5_68
.LBB5_92:
	s_waitcnt lgkmcnt(10)
	global_store_b8 v[1:2], v13, off offset:3328
	s_or_b32 exec_lo, exec_lo, s0
	s_and_saveexec_b32 s0, s15
	s_cbranch_execz .LBB5_69
.LBB5_93:
	s_waitcnt lgkmcnt(9)
	global_store_b8 v[1:2], v12, off offset:3584
	s_or_b32 exec_lo, exec_lo, s0
	s_and_saveexec_b32 s0, s16
	s_cbranch_execz .LBB5_70
.LBB5_94:
	s_waitcnt lgkmcnt(8)
	global_store_b8 v[1:2], v11, off offset:3840
	s_or_b32 exec_lo, exec_lo, s0
	s_and_saveexec_b32 s0, s17
	s_cbranch_execz .LBB5_71
.LBB5_95:
	s_waitcnt lgkmcnt(8)
	v_add_co_u32 v11, vcc_lo, 0x1000, v1
	v_add_co_ci_u32_e32 v12, vcc_lo, 0, v2, vcc_lo
	s_waitcnt lgkmcnt(7)
	global_store_b8 v[11:12], v10, off
	s_or_b32 exec_lo, exec_lo, s0
	s_and_saveexec_b32 s0, s18
	s_cbranch_execz .LBB5_72
.LBB5_96:
	s_waitcnt lgkmcnt(7)
	v_add_co_u32 v10, vcc_lo, 0x1000, v1
	v_add_co_ci_u32_e32 v11, vcc_lo, 0, v2, vcc_lo
	s_waitcnt lgkmcnt(6)
	global_store_b8 v[10:11], v9, off offset:256
	s_or_b32 exec_lo, exec_lo, s0
	s_and_saveexec_b32 s0, s19
	s_cbranch_execz .LBB5_73
.LBB5_97:
	s_waitcnt lgkmcnt(6)
	v_add_co_u32 v9, vcc_lo, 0x1000, v1
	v_add_co_ci_u32_e32 v10, vcc_lo, 0, v2, vcc_lo
	s_waitcnt lgkmcnt(5)
	global_store_b8 v[9:10], v8, off offset:512
	s_or_b32 exec_lo, exec_lo, s0
	s_and_saveexec_b32 s0, s20
	s_cbranch_execz .LBB5_74
.LBB5_98:
	s_waitcnt lgkmcnt(5)
	v_add_co_u32 v8, vcc_lo, 0x1000, v1
	v_add_co_ci_u32_e32 v9, vcc_lo, 0, v2, vcc_lo
	s_waitcnt lgkmcnt(4)
	global_store_b8 v[8:9], v7, off offset:768
	s_or_b32 exec_lo, exec_lo, s0
	s_and_saveexec_b32 s0, s21
	s_cbranch_execz .LBB5_75
.LBB5_99:
	s_waitcnt lgkmcnt(4)
	v_add_co_u32 v7, vcc_lo, 0x1000, v1
	v_add_co_ci_u32_e32 v8, vcc_lo, 0, v2, vcc_lo
	s_waitcnt lgkmcnt(3)
	global_store_b8 v[7:8], v6, off offset:1024
	s_or_b32 exec_lo, exec_lo, s0
	s_and_saveexec_b32 s0, s22
	s_cbranch_execz .LBB5_76
.LBB5_100:
	s_waitcnt lgkmcnt(3)
	v_add_co_u32 v6, vcc_lo, 0x1000, v1
	v_add_co_ci_u32_e32 v7, vcc_lo, 0, v2, vcc_lo
	s_waitcnt lgkmcnt(2)
	global_store_b8 v[6:7], v5, off offset:1280
	s_or_b32 exec_lo, exec_lo, s0
	s_and_saveexec_b32 s0, s23
	s_cbranch_execz .LBB5_77
.LBB5_101:
	s_waitcnt lgkmcnt(2)
	v_add_co_u32 v5, vcc_lo, 0x1000, v1
	v_add_co_ci_u32_e32 v6, vcc_lo, 0, v2, vcc_lo
	s_waitcnt lgkmcnt(1)
	global_store_b8 v[5:6], v4, off offset:1536
	s_or_b32 exec_lo, exec_lo, s0
	s_and_saveexec_b32 s0, s24
	s_cbranch_execz .LBB5_78
.LBB5_102:
	v_add_co_u32 v0, vcc_lo, 0x1000, v1
	v_add_co_ci_u32_e32 v1, vcc_lo, 0, v2, vcc_lo
	s_waitcnt lgkmcnt(0)
	global_store_b8 v[0:1], v3, off offset:1792
	s_nop 0
	s_sendmsg sendmsg(MSG_DEALLOC_VGPRS)
	s_endpgm
	.section	.rodata,"a",@progbits
	.p2align	6, 0x0
	.amdhsa_kernel _ZN7rocprim17ROCPRIM_304000_NS6detail18single_scan_kernelILb0ENS1_19wrapped_scan_configINS0_14default_configEhEEPKhPhSt10multipliesIhEhhEEvT1_mT4_T2_T3_
		.amdhsa_group_segment_fixed_size 6144
		.amdhsa_private_segment_fixed_size 0
		.amdhsa_kernarg_size 36
		.amdhsa_user_sgpr_count 15
		.amdhsa_user_sgpr_dispatch_ptr 0
		.amdhsa_user_sgpr_queue_ptr 0
		.amdhsa_user_sgpr_kernarg_segment_ptr 1
		.amdhsa_user_sgpr_dispatch_id 0
		.amdhsa_user_sgpr_private_segment_size 0
		.amdhsa_wavefront_size32 1
		.amdhsa_uses_dynamic_stack 0
		.amdhsa_enable_private_segment 0
		.amdhsa_system_sgpr_workgroup_id_x 1
		.amdhsa_system_sgpr_workgroup_id_y 0
		.amdhsa_system_sgpr_workgroup_id_z 0
		.amdhsa_system_sgpr_workgroup_info 0
		.amdhsa_system_vgpr_workitem_id 0
		.amdhsa_next_free_vgpr 33
		.amdhsa_next_free_sgpr 28
		.amdhsa_reserve_vcc 1
		.amdhsa_float_round_mode_32 0
		.amdhsa_float_round_mode_16_64 0
		.amdhsa_float_denorm_mode_32 3
		.amdhsa_float_denorm_mode_16_64 3
		.amdhsa_dx10_clamp 1
		.amdhsa_ieee_mode 1
		.amdhsa_fp16_overflow 0
		.amdhsa_workgroup_processor_mode 1
		.amdhsa_memory_ordered 1
		.amdhsa_forward_progress 0
		.amdhsa_shared_vgpr_count 0
		.amdhsa_exception_fp_ieee_invalid_op 0
		.amdhsa_exception_fp_denorm_src 0
		.amdhsa_exception_fp_ieee_div_zero 0
		.amdhsa_exception_fp_ieee_overflow 0
		.amdhsa_exception_fp_ieee_underflow 0
		.amdhsa_exception_fp_ieee_inexact 0
		.amdhsa_exception_int_div_zero 0
	.end_amdhsa_kernel
	.section	.text._ZN7rocprim17ROCPRIM_304000_NS6detail18single_scan_kernelILb0ENS1_19wrapped_scan_configINS0_14default_configEhEEPKhPhSt10multipliesIhEhhEEvT1_mT4_T2_T3_,"axG",@progbits,_ZN7rocprim17ROCPRIM_304000_NS6detail18single_scan_kernelILb0ENS1_19wrapped_scan_configINS0_14default_configEhEEPKhPhSt10multipliesIhEhhEEvT1_mT4_T2_T3_,comdat
.Lfunc_end5:
	.size	_ZN7rocprim17ROCPRIM_304000_NS6detail18single_scan_kernelILb0ENS1_19wrapped_scan_configINS0_14default_configEhEEPKhPhSt10multipliesIhEhhEEvT1_mT4_T2_T3_, .Lfunc_end5-_ZN7rocprim17ROCPRIM_304000_NS6detail18single_scan_kernelILb0ENS1_19wrapped_scan_configINS0_14default_configEhEEPKhPhSt10multipliesIhEhhEEvT1_mT4_T2_T3_
                                        ; -- End function
	.section	.AMDGPU.csdata,"",@progbits
; Kernel info:
; codeLenInByte = 4456
; NumSgprs: 30
; NumVgprs: 33
; ScratchSize: 0
; MemoryBound: 0
; FloatMode: 240
; IeeeMode: 1
; LDSByteSize: 6144 bytes/workgroup (compile time only)
; SGPRBlocks: 3
; VGPRBlocks: 4
; NumSGPRsForWavesPerEU: 30
; NumVGPRsForWavesPerEU: 33
; Occupancy: 16
; WaveLimiterHint : 0
; COMPUTE_PGM_RSRC2:SCRATCH_EN: 0
; COMPUTE_PGM_RSRC2:USER_SGPR: 15
; COMPUTE_PGM_RSRC2:TRAP_HANDLER: 0
; COMPUTE_PGM_RSRC2:TGID_X_EN: 1
; COMPUTE_PGM_RSRC2:TGID_Y_EN: 0
; COMPUTE_PGM_RSRC2:TGID_Z_EN: 0
; COMPUTE_PGM_RSRC2:TIDIG_COMP_CNT: 0
	.section	.text._ZN2at6native32tensor_kernel_scan_innermost_dimIhSt10multipliesIhEEEvPT_PKS4_jjjS4_T0_,"axG",@progbits,_ZN2at6native32tensor_kernel_scan_innermost_dimIhSt10multipliesIhEEEvPT_PKS4_jjjS4_T0_,comdat
	.protected	_ZN2at6native32tensor_kernel_scan_innermost_dimIhSt10multipliesIhEEEvPT_PKS4_jjjS4_T0_ ; -- Begin function _ZN2at6native32tensor_kernel_scan_innermost_dimIhSt10multipliesIhEEEvPT_PKS4_jjjS4_T0_
	.globl	_ZN2at6native32tensor_kernel_scan_innermost_dimIhSt10multipliesIhEEEvPT_PKS4_jjjS4_T0_
	.p2align	8
	.type	_ZN2at6native32tensor_kernel_scan_innermost_dimIhSt10multipliesIhEEEvPT_PKS4_jjjS4_T0_,@function
_ZN2at6native32tensor_kernel_scan_innermost_dimIhSt10multipliesIhEEEvPT_PKS4_jjjS4_T0_: ; @_ZN2at6native32tensor_kernel_scan_innermost_dimIhSt10multipliesIhEEEvPT_PKS4_jjjS4_T0_
; %bb.0:
	s_load_b256 s[16:23], s[0:1], 0x0
	v_bfe_u32 v15, v0, 10, 10
	s_mov_b32 s2, 0
	s_waitcnt lgkmcnt(0)
	s_lshl_b32 s5, 2, s22
	s_mov_b32 s6, s20
	v_mad_u64_u32 v[1:2], null, s5, v15, s[2:3]
	s_mul_hi_u32 s2, s20, s21
	s_delay_alu instid0(SALU_CYCLE_1)
	s_cmp_lg_u32 s2, 0
	s_mov_b32 s2, -1
	s_cbranch_scc1 .LBB6_26
; %bb.1:
	s_load_b32 s4, s[0:1], 0x2c
	s_add_u32 s2, s0, 32
	s_addc_u32 s3, s1, 0
	s_waitcnt lgkmcnt(0)
	s_lshr_b32 s4, s4, 16
	s_delay_alu instid0(SALU_CYCLE_1) | instskip(NEXT) | instid1(SALU_CYCLE_1)
	s_mul_i32 s7, s15, s4
	s_cmp_ge_u32 s7, s20
	s_cbranch_scc1 .LBB6_25
; %bb.2:
	s_load_b32 s9, s[2:3], 0x0
	v_and_b32_e32 v2, 0x3ff, v0
	v_add_nc_u32_e32 v3, -1, v1
	s_cmp_lg_u32 s21, 0
	s_cselect_b32 s8, -1, 0
	s_delay_alu instid0(VALU_DEP_2)
	v_lshl_add_u32 v4, 1, s22, v2
	v_cmp_eq_u32_e64 s2, 0, v2
	v_add_nc_u32_e32 v5, s5, v3
	v_add_nc_u32_e32 v6, v1, v2
	s_add_i32 s10, s22, 1
	v_add_nc_u32_e32 v7, v1, v4
	s_waitcnt lgkmcnt(0)
	s_mul_i32 s9, s9, s4
	s_branch .LBB6_4
.LBB6_3:                                ;   in Loop: Header=BB6_4 Depth=1
	s_add_i32 s7, s7, s9
	s_delay_alu instid0(SALU_CYCLE_1)
	s_cmp_ge_u32 s7, s20
	s_cbranch_scc1 .LBB6_25
.LBB6_4:                                ; =>This Loop Header: Depth=1
                                        ;     Child Loop BB6_7 Depth 2
                                        ;       Child Loop BB6_16 Depth 3
	s_and_not1_b32 vcc_lo, exec_lo, s8
	s_cbranch_vccnz .LBB6_3
; %bb.5:                                ;   in Loop: Header=BB6_4 Depth=1
	v_add_nc_u32_e32 v8, s7, v15
	v_mov_b32_e32 v14, s23
	s_mov_b32 s11, 0
	s_delay_alu instid0(VALU_DEP_2) | instskip(SKIP_2) | instid1(VALU_DEP_3)
	v_mul_lo_u32 v10, v8, s21
	v_cmp_gt_u32_e32 vcc_lo, s20, v8
	v_cmp_le_u32_e64 s3, s20, v8
	v_add_co_u32 v8, s4, s18, v10
	s_delay_alu instid0(VALU_DEP_1) | instskip(SKIP_1) | instid1(VALU_DEP_1)
	v_add_co_ci_u32_e64 v9, null, s19, 0, s4
	v_add_co_u32 v10, s4, s16, v10
	v_add_co_ci_u32_e64 v11, null, s17, 0, s4
	s_branch .LBB6_7
.LBB6_6:                                ;   in Loop: Header=BB6_7 Depth=2
	s_or_b32 exec_lo, exec_lo, s12
	ds_load_u8 v14, v5
	s_add_i32 s11, s11, s5
	s_waitcnt lgkmcnt(0)
	s_waitcnt_vscnt null, 0x0
	s_cmp_ge_u32 s11, s21
	s_barrier
	buffer_gl0_inv
	s_cbranch_scc1 .LBB6_3
.LBB6_7:                                ;   Parent Loop BB6_4 Depth=1
                                        ; =>  This Loop Header: Depth=2
                                        ;       Child Loop BB6_16 Depth 3
	v_add_nc_u32_e32 v13, s11, v2
	v_add_nc_u32_e32 v12, s11, v4
	s_and_saveexec_b32 s12, vcc_lo
	s_cbranch_execz .LBB6_14
; %bb.8:                                ;   in Loop: Header=BB6_7 Depth=2
	v_mov_b32_e32 v16, s23
	s_mov_b32 s13, exec_lo
	v_cmpx_gt_u32_e64 s21, v13
	s_cbranch_execz .LBB6_10
; %bb.9:                                ;   in Loop: Header=BB6_7 Depth=2
	v_add_co_u32 v16, s4, v8, v13
	s_delay_alu instid0(VALU_DEP_1)
	v_add_co_ci_u32_e64 v17, s4, 0, v9, s4
	global_load_u8 v16, v[16:17], off
.LBB6_10:                               ;   in Loop: Header=BB6_7 Depth=2
	s_or_b32 exec_lo, exec_lo, s13
	v_mov_b32_e32 v17, s23
	s_mov_b32 s13, exec_lo
	s_waitcnt vmcnt(0)
	ds_store_b8 v6, v16
	v_cmpx_gt_u32_e64 s21, v12
	s_cbranch_execz .LBB6_12
; %bb.11:                               ;   in Loop: Header=BB6_7 Depth=2
	v_add_co_u32 v16, s4, v8, v12
	s_delay_alu instid0(VALU_DEP_1)
	v_add_co_ci_u32_e64 v17, s4, 0, v9, s4
	global_load_u8 v17, v[16:17], off
.LBB6_12:                               ;   in Loop: Header=BB6_7 Depth=2
	s_or_b32 exec_lo, exec_lo, s13
	s_waitcnt vmcnt(0)
	ds_store_b8 v7, v17
	s_and_b32 exec_lo, exec_lo, s2
	s_cbranch_execz .LBB6_14
; %bb.13:                               ;   in Loop: Header=BB6_7 Depth=2
	ds_load_u8 v16, v1
	s_waitcnt lgkmcnt(0)
	v_mul_lo_u16 v14, v16, v14
	ds_store_b8 v1, v14
.LBB6_14:                               ;   in Loop: Header=BB6_7 Depth=2
	s_or_b32 exec_lo, exec_lo, s12
	v_mov_b32_e32 v14, 0
	s_mov_b32 s12, 0
	s_waitcnt lgkmcnt(0)
	s_barrier
	buffer_gl0_inv
	s_set_inst_prefetch_distance 0x1
	s_branch .LBB6_16
	.p2align	6
.LBB6_15:                               ;   in Loop: Header=BB6_16 Depth=3
	s_or_b32 exec_lo, exec_lo, s4
	s_delay_alu instid0(VALU_DEP_1) | instskip(SKIP_4) | instid1(SALU_CYCLE_1)
	v_cmp_eq_u32_e64 s4, s10, v14
	s_waitcnt lgkmcnt(0)
	s_barrier
	buffer_gl0_inv
	s_or_b32 s12, s4, s12
	s_and_not1_b32 exec_lo, exec_lo, s12
	s_cbranch_execz .LBB6_20
.LBB6_16:                               ;   Parent Loop BB6_4 Depth=1
                                        ;     Parent Loop BB6_7 Depth=2
                                        ; =>    This Inner Loop Header: Depth=3
	v_add_nc_u32_e32 v16, 1, v14
	s_and_saveexec_b32 s4, s3
	s_delay_alu instid0(SALU_CYCLE_1)
	s_xor_b32 s4, exec_lo, s4
; %bb.17:                               ;   in Loop: Header=BB6_16 Depth=3
	v_add_nc_u32_e32 v14, 1, v14
                                        ; implicit-def: $vgpr16
; %bb.18:                               ;   in Loop: Header=BB6_16 Depth=3
	s_and_not1_saveexec_b32 s4, s4
	s_cbranch_execz .LBB6_15
; %bb.19:                               ;   in Loop: Header=BB6_16 Depth=3
	s_delay_alu instid0(VALU_DEP_1) | instskip(SKIP_2) | instid1(VALU_DEP_2)
	v_lshlrev_b32_e64 v17, v14, 1
	v_lshrrev_b32_e32 v18, v14, v2
	v_bfm_b32 v14, v14, 0
	v_lshl_or_b32 v17, v18, v16, v17
	s_delay_alu instid0(VALU_DEP_2) | instskip(NEXT) | instid1(VALU_DEP_1)
	v_and_b32_e32 v14, v14, v2
	v_add3_u32 v18, v1, v17, v14
	v_add_nc_u32_e32 v14, v3, v17
	ds_load_u8 v17, v18
	ds_load_u8 v14, v14
	s_waitcnt lgkmcnt(0)
	v_mul_lo_u16 v17, v14, v17
	v_mov_b32_e32 v14, v16
	ds_store_b8 v18, v17
	s_branch .LBB6_15
.LBB6_20:                               ;   in Loop: Header=BB6_7 Depth=2
	s_set_inst_prefetch_distance 0x2
	s_or_b32 exec_lo, exec_lo, s12
	s_and_saveexec_b32 s12, vcc_lo
	s_cbranch_execz .LBB6_6
; %bb.21:                               ;   in Loop: Header=BB6_7 Depth=2
	s_mov_b32 s13, exec_lo
	v_cmpx_gt_u32_e64 s21, v13
	s_cbranch_execz .LBB6_23
; %bb.22:                               ;   in Loop: Header=BB6_7 Depth=2
	ds_load_u8 v16, v6
	v_add_co_u32 v13, s4, v10, v13
	s_delay_alu instid0(VALU_DEP_1)
	v_add_co_ci_u32_e64 v14, s4, 0, v11, s4
	s_waitcnt lgkmcnt(0)
	global_store_b8 v[13:14], v16, off
.LBB6_23:                               ;   in Loop: Header=BB6_7 Depth=2
	s_or_b32 exec_lo, exec_lo, s13
	v_cmp_gt_u32_e64 s4, s21, v12
	s_delay_alu instid0(VALU_DEP_1)
	s_and_b32 exec_lo, exec_lo, s4
	s_cbranch_execz .LBB6_6
; %bb.24:                               ;   in Loop: Header=BB6_7 Depth=2
	ds_load_u8 v14, v7
	v_add_co_u32 v12, s4, v10, v12
	s_delay_alu instid0(VALU_DEP_1)
	v_add_co_ci_u32_e64 v13, s4, 0, v11, s4
	s_waitcnt lgkmcnt(0)
	global_store_b8 v[12:13], v14, off
	s_branch .LBB6_6
.LBB6_25:
	s_mov_b32 s2, 0
.LBB6_26:
	s_delay_alu instid0(SALU_CYCLE_1)
	s_and_not1_b32 vcc_lo, exec_lo, s2
	s_cbranch_vccnz .LBB6_53
; %bb.27:
	s_load_b32 s2, s[0:1], 0x2c
	s_add_u32 s0, s0, 32
	s_addc_u32 s1, s1, 0
	s_mov_b32 s7, 0
	s_waitcnt lgkmcnt(0)
	s_lshr_b32 s2, s2, 16
	s_delay_alu instid0(SALU_CYCLE_1) | instskip(SKIP_1) | instid1(SALU_CYCLE_1)
	s_mul_hi_u32 s5, s2, s15
	s_mul_i32 s4, s2, s15
	v_cmp_ge_u64_e64 s3, s[4:5], s[6:7]
	s_delay_alu instid0(VALU_DEP_1)
	s_and_b32 vcc_lo, exec_lo, s3
	s_cbranch_vccnz .LBB6_53
; %bb.28:
	s_load_b32 s1, s[0:1], 0x0
	s_lshl_b32 s8, 1, s22
	s_and_b32 s2, 0xffff, s2
	v_dual_mov_b32 v3, 0 :: v_dual_and_b32 v2, 0x3ff, v0
	v_add_nc_u32_e32 v4, -1, v1
	s_ashr_i32 s9, s8, 31
	v_add_nc_u32_e32 v5, s8, v1
	s_cmp_lg_u32 s21, 0
	v_cmp_eq_u32_e64 s0, 0, v2
	s_cselect_b32 s3, -1, 0
	s_lshl_b64 s[12:13], s[8:9], 1
	v_add_nc_u32_e32 v0, v1, v2
	v_add_nc_u32_e32 v16, s12, v4
	;; [unrolled: 1-line block ×3, first 2 shown]
	s_mov_b32 s10, s21
	s_mov_b32 s11, s7
	s_add_i32 s21, s22, 1
	s_waitcnt lgkmcnt(0)
	s_mul_i32 s20, s1, s2
	s_branch .LBB6_30
.LBB6_29:                               ;   in Loop: Header=BB6_30 Depth=1
	s_add_u32 s4, s4, s20
	s_addc_u32 s5, s5, 0
	s_delay_alu instid0(SALU_CYCLE_1) | instskip(NEXT) | instid1(VALU_DEP_1)
	v_cmp_ge_u64_e64 s1, s[4:5], s[6:7]
	s_and_b32 vcc_lo, exec_lo, s1
	s_cbranch_vccnz .LBB6_53
.LBB6_30:                               ; =>This Loop Header: Depth=1
                                        ;     Child Loop BB6_33 Depth 2
                                        ;       Child Loop BB6_43 Depth 3
	s_and_not1_b32 vcc_lo, exec_lo, s3
	s_cbranch_vccnz .LBB6_29
; %bb.31:                               ;   in Loop: Header=BB6_30 Depth=1
	v_add_co_u32 v8, s1, s4, v15
	s_delay_alu instid0(VALU_DEP_1) | instskip(SKIP_1) | instid1(VALU_DEP_2)
	v_add_co_ci_u32_e64 v9, null, s5, 0, s1
	s_mov_b64 s[14:15], 0
	v_mad_u64_u32 v[4:5], null, v8, s10, s[18:19]
	s_delay_alu instid0(VALU_DEP_2) | instskip(SKIP_3) | instid1(VALU_DEP_4)
	v_mul_lo_u32 v10, v9, s10
	v_mad_u64_u32 v[6:7], null, v8, s10, s[16:17]
	v_cmp_gt_u64_e64 s1, s[6:7], v[8:9]
	v_cmp_le_u64_e64 s2, s[6:7], v[8:9]
	v_dual_mov_b32 v12, s23 :: v_dual_add_nc_u32 v5, v10, v5
	s_delay_alu instid0(VALU_DEP_4)
	v_add_nc_u32_e32 v7, v10, v7
	s_branch .LBB6_33
.LBB6_32:                               ;   in Loop: Header=BB6_33 Depth=2
	s_or_b32 exec_lo, exec_lo, s22
	ds_load_u8 v12, v16
	s_add_u32 s14, s14, s12
	s_addc_u32 s15, s15, s13
	s_waitcnt lgkmcnt(0)
	s_waitcnt_vscnt null, 0x0
	v_cmp_ge_u64_e64 s22, s[14:15], s[10:11]
	s_barrier
	buffer_gl0_inv
	s_and_b32 vcc_lo, exec_lo, s22
	s_cbranch_vccnz .LBB6_29
.LBB6_33:                               ;   Parent Loop BB6_30 Depth=1
                                        ; =>  This Loop Header: Depth=2
                                        ;       Child Loop BB6_43 Depth 3
	v_add_co_u32 v10, s22, s14, v2
	s_delay_alu instid0(VALU_DEP_1) | instskip(NEXT) | instid1(VALU_DEP_2)
	v_add_co_ci_u32_e64 v11, null, s15, 0, s22
	v_add_co_u32 v8, vcc_lo, v10, s8
	s_delay_alu instid0(VALU_DEP_2)
	v_add_co_ci_u32_e32 v9, vcc_lo, s9, v11, vcc_lo
	s_and_saveexec_b32 s22, s1
	s_cbranch_execz .LBB6_40
; %bb.34:                               ;   in Loop: Header=BB6_33 Depth=2
	v_mov_b32_e32 v13, s23
	s_mov_b32 s24, exec_lo
	v_cmpx_gt_u64_e64 s[10:11], v[10:11]
	s_cbranch_execz .LBB6_36
; %bb.35:                               ;   in Loop: Header=BB6_33 Depth=2
	v_add_co_u32 v13, vcc_lo, v4, v10
	v_add_co_ci_u32_e32 v14, vcc_lo, v5, v11, vcc_lo
	global_load_u8 v13, v[13:14], off
.LBB6_36:                               ;   in Loop: Header=BB6_33 Depth=2
	s_or_b32 exec_lo, exec_lo, s24
	v_mov_b32_e32 v14, s23
	s_mov_b32 s24, exec_lo
	s_waitcnt vmcnt(0)
	ds_store_b8 v0, v13
	v_cmpx_gt_u64_e64 s[10:11], v[8:9]
	s_cbranch_execz .LBB6_38
; %bb.37:                               ;   in Loop: Header=BB6_33 Depth=2
	v_add_co_u32 v13, vcc_lo, v4, v8
	v_add_co_ci_u32_e32 v14, vcc_lo, v5, v9, vcc_lo
	global_load_u8 v14, v[13:14], off
.LBB6_38:                               ;   in Loop: Header=BB6_33 Depth=2
	s_or_b32 exec_lo, exec_lo, s24
	s_waitcnt vmcnt(0)
	ds_store_b8 v17, v14
	s_and_b32 exec_lo, exec_lo, s0
	s_cbranch_execz .LBB6_40
; %bb.39:                               ;   in Loop: Header=BB6_33 Depth=2
	ds_load_u8 v13, v1
	s_waitcnt lgkmcnt(0)
	v_mul_lo_u16 v12, v13, v12
	ds_store_b8 v1, v12
.LBB6_40:                               ;   in Loop: Header=BB6_33 Depth=2
	s_or_b32 exec_lo, exec_lo, s22
	v_mov_b32_e32 v19, 0
	s_mov_b32 s22, 0
	s_waitcnt lgkmcnt(0)
	s_barrier
	buffer_gl0_inv
	s_branch .LBB6_43
.LBB6_41:                               ;   in Loop: Header=BB6_43 Depth=3
	s_or_b32 exec_lo, exec_lo, s25
	v_lshrrev_b32_e32 v14, v19, v2
	s_delay_alu instid0(VALU_DEP_1) | instskip(NEXT) | instid1(VALU_DEP_1)
	v_lshl_or_b32 v12, v14, v18, v12
	v_add_nc_u32_e32 v12, v1, v12
	s_delay_alu instid0(VALU_DEP_1)
	v_add_nc_u32_e32 v13, v12, v13
	v_add_nc_u32_e32 v12, -1, v12
	ds_load_u8 v14, v13
	ds_load_u8 v12, v12
	s_waitcnt lgkmcnt(0)
	v_mul_lo_u16 v12, v12, v14
	ds_store_b8 v13, v12
.LBB6_42:                               ;   in Loop: Header=BB6_43 Depth=3
	s_or_b32 exec_lo, exec_lo, s24
	s_delay_alu instid0(VALU_DEP_1)
	v_cmp_eq_u32_e32 vcc_lo, s21, v18
	v_mov_b32_e32 v19, v18
	s_waitcnt lgkmcnt(0)
	s_barrier
	buffer_gl0_inv
	s_or_b32 s22, vcc_lo, s22
	s_delay_alu instid0(SALU_CYCLE_1)
	s_and_not1_b32 exec_lo, exec_lo, s22
	s_cbranch_execz .LBB6_48
.LBB6_43:                               ;   Parent Loop BB6_30 Depth=1
                                        ;     Parent Loop BB6_33 Depth=2
                                        ; =>    This Inner Loop Header: Depth=3
	v_add_nc_u32_e32 v18, 1, v19
	s_and_saveexec_b32 s24, s2
	s_delay_alu instid0(SALU_CYCLE_1)
	s_xor_b32 s24, exec_lo, s24
; %bb.44:                               ;   in Loop: Header=BB6_43 Depth=3
	v_add_nc_u32_e32 v18, 1, v19
                                        ; implicit-def: $vgpr19
; %bb.45:                               ;   in Loop: Header=BB6_43 Depth=3
	s_and_not1_saveexec_b32 s24, s24
	s_cbranch_execz .LBB6_42
; %bb.46:                               ;   in Loop: Header=BB6_43 Depth=3
	v_lshlrev_b32_e64 v12, v19, 1
	s_delay_alu instid0(VALU_DEP_1) | instskip(NEXT) | instid1(VALU_DEP_1)
	v_ashrrev_i32_e32 v13, 31, v12
	v_cmp_ge_u64_e32 vcc_lo, v[2:3], v[12:13]
	v_dual_mov_b32 v14, v3 :: v_dual_mov_b32 v13, v2
	s_and_saveexec_b32 s25, vcc_lo
	s_cbranch_execz .LBB6_41
; %bb.47:                               ;   in Loop: Header=BB6_43 Depth=3
	v_cvt_f32_u32_e32 v13, v12
	v_sub_nc_u32_e32 v14, 0, v12
	s_delay_alu instid0(VALU_DEP_2) | instskip(SKIP_2) | instid1(VALU_DEP_1)
	v_rcp_iflag_f32_e32 v13, v13
	s_waitcnt_depctr 0xfff
	v_mul_f32_e32 v13, 0x4f7ffffe, v13
	v_cvt_u32_f32_e32 v13, v13
	s_delay_alu instid0(VALU_DEP_1) | instskip(NEXT) | instid1(VALU_DEP_1)
	v_mul_lo_u32 v14, v14, v13
	v_mul_hi_u32 v14, v13, v14
	s_delay_alu instid0(VALU_DEP_1) | instskip(NEXT) | instid1(VALU_DEP_1)
	v_add_nc_u32_e32 v13, v13, v14
	v_mul_hi_u32 v13, v2, v13
	s_delay_alu instid0(VALU_DEP_1) | instskip(NEXT) | instid1(VALU_DEP_1)
	v_mul_lo_u32 v13, v13, v12
	v_sub_nc_u32_e32 v13, v2, v13
	s_delay_alu instid0(VALU_DEP_1) | instskip(SKIP_1) | instid1(VALU_DEP_2)
	v_sub_nc_u32_e32 v14, v13, v12
	v_cmp_ge_u32_e32 vcc_lo, v13, v12
	v_cndmask_b32_e32 v13, v13, v14, vcc_lo
	s_delay_alu instid0(VALU_DEP_1) | instskip(SKIP_1) | instid1(VALU_DEP_2)
	v_sub_nc_u32_e32 v14, v13, v12
	v_cmp_ge_u32_e32 vcc_lo, v13, v12
	v_cndmask_b32_e32 v13, v13, v14, vcc_lo
	s_branch .LBB6_41
.LBB6_48:                               ;   in Loop: Header=BB6_33 Depth=2
	s_or_b32 exec_lo, exec_lo, s22
	s_and_saveexec_b32 s22, s1
	s_cbranch_execz .LBB6_32
; %bb.49:                               ;   in Loop: Header=BB6_33 Depth=2
	s_mov_b32 s24, exec_lo
	v_cmpx_gt_u64_e64 s[10:11], v[10:11]
	s_cbranch_execz .LBB6_51
; %bb.50:                               ;   in Loop: Header=BB6_33 Depth=2
	ds_load_u8 v12, v0
	v_add_co_u32 v10, vcc_lo, v6, v10
	v_add_co_ci_u32_e32 v11, vcc_lo, v7, v11, vcc_lo
	s_waitcnt lgkmcnt(0)
	global_store_b8 v[10:11], v12, off
.LBB6_51:                               ;   in Loop: Header=BB6_33 Depth=2
	s_or_b32 exec_lo, exec_lo, s24
	v_cmp_gt_u64_e32 vcc_lo, s[10:11], v[8:9]
	s_and_b32 exec_lo, exec_lo, vcc_lo
	s_cbranch_execz .LBB6_32
; %bb.52:                               ;   in Loop: Header=BB6_33 Depth=2
	ds_load_u8 v10, v17
	v_add_co_u32 v8, vcc_lo, v6, v8
	v_add_co_ci_u32_e32 v9, vcc_lo, v7, v9, vcc_lo
	s_waitcnt lgkmcnt(0)
	global_store_b8 v[8:9], v10, off
	s_branch .LBB6_32
.LBB6_53:
	s_endpgm
	.section	.rodata,"a",@progbits
	.p2align	6, 0x0
	.amdhsa_kernel _ZN2at6native32tensor_kernel_scan_innermost_dimIhSt10multipliesIhEEEvPT_PKS4_jjjS4_T0_
		.amdhsa_group_segment_fixed_size 0
		.amdhsa_private_segment_fixed_size 0
		.amdhsa_kernarg_size 288
		.amdhsa_user_sgpr_count 15
		.amdhsa_user_sgpr_dispatch_ptr 0
		.amdhsa_user_sgpr_queue_ptr 0
		.amdhsa_user_sgpr_kernarg_segment_ptr 1
		.amdhsa_user_sgpr_dispatch_id 0
		.amdhsa_user_sgpr_private_segment_size 0
		.amdhsa_wavefront_size32 1
		.amdhsa_uses_dynamic_stack 0
		.amdhsa_enable_private_segment 0
		.amdhsa_system_sgpr_workgroup_id_x 1
		.amdhsa_system_sgpr_workgroup_id_y 0
		.amdhsa_system_sgpr_workgroup_id_z 0
		.amdhsa_system_sgpr_workgroup_info 0
		.amdhsa_system_vgpr_workitem_id 1
		.amdhsa_next_free_vgpr 20
		.amdhsa_next_free_sgpr 26
		.amdhsa_reserve_vcc 1
		.amdhsa_float_round_mode_32 0
		.amdhsa_float_round_mode_16_64 0
		.amdhsa_float_denorm_mode_32 3
		.amdhsa_float_denorm_mode_16_64 3
		.amdhsa_dx10_clamp 1
		.amdhsa_ieee_mode 1
		.amdhsa_fp16_overflow 0
		.amdhsa_workgroup_processor_mode 1
		.amdhsa_memory_ordered 1
		.amdhsa_forward_progress 0
		.amdhsa_shared_vgpr_count 0
		.amdhsa_exception_fp_ieee_invalid_op 0
		.amdhsa_exception_fp_denorm_src 0
		.amdhsa_exception_fp_ieee_div_zero 0
		.amdhsa_exception_fp_ieee_overflow 0
		.amdhsa_exception_fp_ieee_underflow 0
		.amdhsa_exception_fp_ieee_inexact 0
		.amdhsa_exception_int_div_zero 0
	.end_amdhsa_kernel
	.section	.text._ZN2at6native32tensor_kernel_scan_innermost_dimIhSt10multipliesIhEEEvPT_PKS4_jjjS4_T0_,"axG",@progbits,_ZN2at6native32tensor_kernel_scan_innermost_dimIhSt10multipliesIhEEEvPT_PKS4_jjjS4_T0_,comdat
.Lfunc_end6:
	.size	_ZN2at6native32tensor_kernel_scan_innermost_dimIhSt10multipliesIhEEEvPT_PKS4_jjjS4_T0_, .Lfunc_end6-_ZN2at6native32tensor_kernel_scan_innermost_dimIhSt10multipliesIhEEEvPT_PKS4_jjjS4_T0_
                                        ; -- End function
	.section	.AMDGPU.csdata,"",@progbits
; Kernel info:
; codeLenInByte = 1844
; NumSgprs: 28
; NumVgprs: 20
; ScratchSize: 0
; MemoryBound: 0
; FloatMode: 240
; IeeeMode: 1
; LDSByteSize: 0 bytes/workgroup (compile time only)
; SGPRBlocks: 3
; VGPRBlocks: 2
; NumSGPRsForWavesPerEU: 28
; NumVGPRsForWavesPerEU: 20
; Occupancy: 16
; WaveLimiterHint : 0
; COMPUTE_PGM_RSRC2:SCRATCH_EN: 0
; COMPUTE_PGM_RSRC2:USER_SGPR: 15
; COMPUTE_PGM_RSRC2:TRAP_HANDLER: 0
; COMPUTE_PGM_RSRC2:TGID_X_EN: 1
; COMPUTE_PGM_RSRC2:TGID_Y_EN: 0
; COMPUTE_PGM_RSRC2:TGID_Z_EN: 0
; COMPUTE_PGM_RSRC2:TIDIG_COMP_CNT: 1
	.section	.text._ZN2at6native28tensor_kernel_scan_outer_dimIhjSt10multipliesIhEEEvPT_PKS4_jjjS4_T1_,"axG",@progbits,_ZN2at6native28tensor_kernel_scan_outer_dimIhjSt10multipliesIhEEEvPT_PKS4_jjjS4_T1_,comdat
	.protected	_ZN2at6native28tensor_kernel_scan_outer_dimIhjSt10multipliesIhEEEvPT_PKS4_jjjS4_T1_ ; -- Begin function _ZN2at6native28tensor_kernel_scan_outer_dimIhjSt10multipliesIhEEEvPT_PKS4_jjjS4_T1_
	.globl	_ZN2at6native28tensor_kernel_scan_outer_dimIhjSt10multipliesIhEEEvPT_PKS4_jjjS4_T1_
	.p2align	8
	.type	_ZN2at6native28tensor_kernel_scan_outer_dimIhjSt10multipliesIhEEEvPT_PKS4_jjjS4_T1_,@function
_ZN2at6native28tensor_kernel_scan_outer_dimIhjSt10multipliesIhEEEvPT_PKS4_jjjS4_T1_: ; @_ZN2at6native28tensor_kernel_scan_outer_dimIhjSt10multipliesIhEEEvPT_PKS4_jjjS4_T1_
; %bb.0:
	s_load_b128 s[4:7], s[0:1], 0x10
	s_waitcnt lgkmcnt(0)
	s_cmp_ge_u32 s14, s4
	s_cbranch_scc1 .LBB7_9
; %bb.1:
	s_clause 0x2
	s_load_b32 s13, s[0:1], 0x2c
	s_load_b32 s12, s[0:1], 0x20
	s_load_b128 s[8:11], s[0:1], 0x0
	s_add_u32 s2, s0, 32
	s_addc_u32 s3, s1, 0
	s_mul_i32 s16, s14, s6
	s_delay_alu instid0(SALU_CYCLE_1)
	s_mul_i32 s16, s16, s5
	s_waitcnt lgkmcnt(0)
	s_and_b32 s1, s13, 0xffff
	s_cmp_lg_u32 s6, 0
	v_mad_u64_u32 v[1:2], null, s15, s1, v[0:1]
	s_mul_i32 s17, s12, s6
	s_mov_b32 s13, s5
	s_cselect_b32 s15, -1, 0
	s_mul_i32 s17, s17, s5
	s_delay_alu instid0(VALU_DEP_1)
	v_cmp_gt_u32_e64 s0, s5, v1
	s_set_inst_prefetch_distance 0x1
	s_branch .LBB7_3
	.p2align	6
.LBB7_2:                                ;   in Loop: Header=BB7_3 Depth=1
	s_or_b32 exec_lo, exec_lo, s18
	s_add_i32 s14, s12, s14
	s_add_i32 s16, s16, s17
	s_cmp_ge_u32 s14, s4
	s_cbranch_scc1 .LBB7_9
.LBB7_3:                                ; =>This Loop Header: Depth=1
                                        ;     Child Loop BB7_6 Depth 2
                                        ;       Child Loop BB7_8 Depth 3
	s_delay_alu instid0(VALU_DEP_1)
	s_and_saveexec_b32 s18, s0
	s_cbranch_execz .LBB7_2
; %bb.4:                                ;   in Loop: Header=BB7_3 Depth=1
	s_load_b32 s19, s[2:3], 0x4
	v_mov_b32_e32 v0, v1
	s_mov_b32 s20, 0
	s_waitcnt lgkmcnt(0)
	s_mul_i32 s19, s19, s1
	s_branch .LBB7_6
	.p2align	6
.LBB7_5:                                ;   in Loop: Header=BB7_6 Depth=2
	v_add_nc_u32_e32 v0, s19, v0
	s_delay_alu instid0(VALU_DEP_1) | instskip(SKIP_1) | instid1(SALU_CYCLE_1)
	v_cmp_le_u32_e32 vcc_lo, s5, v0
	s_or_b32 s20, vcc_lo, s20
	s_and_not1_b32 exec_lo, exec_lo, s20
	s_cbranch_execz .LBB7_2
.LBB7_6:                                ;   Parent Loop BB7_3 Depth=1
                                        ; =>  This Loop Header: Depth=2
                                        ;       Child Loop BB7_8 Depth 3
	s_and_not1_b32 vcc_lo, exec_lo, s15
	s_cbranch_vccnz .LBB7_5
; %bb.7:                                ;   in Loop: Header=BB7_6 Depth=2
	v_add_co_u32 v2, s21, s16, v0
	s_delay_alu instid0(VALU_DEP_1)
	v_add_co_ci_u32_e64 v3, null, 0, 0, s21
	v_mov_b32_e32 v4, s7
	s_mov_b32 s21, s6
	.p2align	6
.LBB7_8:                                ;   Parent Loop BB7_3 Depth=1
                                        ;     Parent Loop BB7_6 Depth=2
                                        ; =>    This Inner Loop Header: Depth=3
	s_delay_alu instid0(VALU_DEP_3) | instskip(NEXT) | instid1(VALU_DEP_3)
	v_add_co_u32 v5, vcc_lo, s10, v2
	v_add_co_ci_u32_e32 v6, vcc_lo, s11, v3, vcc_lo
	s_add_i32 s21, s21, -1
	s_delay_alu instid0(SALU_CYCLE_1)
	s_cmp_eq_u32 s21, 0
	global_load_u8 v7, v[5:6], off
	v_add_co_u32 v5, vcc_lo, s8, v2
	v_add_co_ci_u32_e32 v6, vcc_lo, s9, v3, vcc_lo
	v_add_co_u32 v2, vcc_lo, v2, s13
	v_add_co_ci_u32_e32 v3, vcc_lo, 0, v3, vcc_lo
	s_waitcnt vmcnt(0)
	v_mul_lo_u16 v4, v7, v4
	global_store_b8 v[5:6], v4, off
	s_cbranch_scc0 .LBB7_8
	s_branch .LBB7_5
.LBB7_9:
	s_set_inst_prefetch_distance 0x2
	s_nop 0
	s_sendmsg sendmsg(MSG_DEALLOC_VGPRS)
	s_endpgm
	.section	.rodata,"a",@progbits
	.p2align	6, 0x0
	.amdhsa_kernel _ZN2at6native28tensor_kernel_scan_outer_dimIhjSt10multipliesIhEEEvPT_PKS4_jjjS4_T1_
		.amdhsa_group_segment_fixed_size 0
		.amdhsa_private_segment_fixed_size 0
		.amdhsa_kernarg_size 288
		.amdhsa_user_sgpr_count 14
		.amdhsa_user_sgpr_dispatch_ptr 0
		.amdhsa_user_sgpr_queue_ptr 0
		.amdhsa_user_sgpr_kernarg_segment_ptr 1
		.amdhsa_user_sgpr_dispatch_id 0
		.amdhsa_user_sgpr_private_segment_size 0
		.amdhsa_wavefront_size32 1
		.amdhsa_uses_dynamic_stack 0
		.amdhsa_enable_private_segment 0
		.amdhsa_system_sgpr_workgroup_id_x 1
		.amdhsa_system_sgpr_workgroup_id_y 1
		.amdhsa_system_sgpr_workgroup_id_z 0
		.amdhsa_system_sgpr_workgroup_info 0
		.amdhsa_system_vgpr_workitem_id 0
		.amdhsa_next_free_vgpr 8
		.amdhsa_next_free_sgpr 22
		.amdhsa_reserve_vcc 1
		.amdhsa_float_round_mode_32 0
		.amdhsa_float_round_mode_16_64 0
		.amdhsa_float_denorm_mode_32 3
		.amdhsa_float_denorm_mode_16_64 3
		.amdhsa_dx10_clamp 1
		.amdhsa_ieee_mode 1
		.amdhsa_fp16_overflow 0
		.amdhsa_workgroup_processor_mode 1
		.amdhsa_memory_ordered 1
		.amdhsa_forward_progress 0
		.amdhsa_shared_vgpr_count 0
		.amdhsa_exception_fp_ieee_invalid_op 0
		.amdhsa_exception_fp_denorm_src 0
		.amdhsa_exception_fp_ieee_div_zero 0
		.amdhsa_exception_fp_ieee_overflow 0
		.amdhsa_exception_fp_ieee_underflow 0
		.amdhsa_exception_fp_ieee_inexact 0
		.amdhsa_exception_int_div_zero 0
	.end_amdhsa_kernel
	.section	.text._ZN2at6native28tensor_kernel_scan_outer_dimIhjSt10multipliesIhEEEvPT_PKS4_jjjS4_T1_,"axG",@progbits,_ZN2at6native28tensor_kernel_scan_outer_dimIhjSt10multipliesIhEEEvPT_PKS4_jjjS4_T1_,comdat
.Lfunc_end7:
	.size	_ZN2at6native28tensor_kernel_scan_outer_dimIhjSt10multipliesIhEEEvPT_PKS4_jjjS4_T1_, .Lfunc_end7-_ZN2at6native28tensor_kernel_scan_outer_dimIhjSt10multipliesIhEEEvPT_PKS4_jjjS4_T1_
                                        ; -- End function
	.section	.AMDGPU.csdata,"",@progbits
; Kernel info:
; codeLenInByte = 352
; NumSgprs: 24
; NumVgprs: 8
; ScratchSize: 0
; MemoryBound: 0
; FloatMode: 240
; IeeeMode: 1
; LDSByteSize: 0 bytes/workgroup (compile time only)
; SGPRBlocks: 2
; VGPRBlocks: 0
; NumSGPRsForWavesPerEU: 24
; NumVGPRsForWavesPerEU: 8
; Occupancy: 16
; WaveLimiterHint : 0
; COMPUTE_PGM_RSRC2:SCRATCH_EN: 0
; COMPUTE_PGM_RSRC2:USER_SGPR: 14
; COMPUTE_PGM_RSRC2:TRAP_HANDLER: 0
; COMPUTE_PGM_RSRC2:TGID_X_EN: 1
; COMPUTE_PGM_RSRC2:TGID_Y_EN: 1
; COMPUTE_PGM_RSRC2:TGID_Z_EN: 0
; COMPUTE_PGM_RSRC2:TIDIG_COMP_CNT: 0
	.section	.text._ZN2at6native28tensor_kernel_scan_outer_dimIhmSt10multipliesIhEEEvPT_PKS4_jjjS4_T1_,"axG",@progbits,_ZN2at6native28tensor_kernel_scan_outer_dimIhmSt10multipliesIhEEEvPT_PKS4_jjjS4_T1_,comdat
	.protected	_ZN2at6native28tensor_kernel_scan_outer_dimIhmSt10multipliesIhEEEvPT_PKS4_jjjS4_T1_ ; -- Begin function _ZN2at6native28tensor_kernel_scan_outer_dimIhmSt10multipliesIhEEEvPT_PKS4_jjjS4_T1_
	.globl	_ZN2at6native28tensor_kernel_scan_outer_dimIhmSt10multipliesIhEEEvPT_PKS4_jjjS4_T1_
	.p2align	8
	.type	_ZN2at6native28tensor_kernel_scan_outer_dimIhmSt10multipliesIhEEEvPT_PKS4_jjjS4_T1_,@function
_ZN2at6native28tensor_kernel_scan_outer_dimIhmSt10multipliesIhEEEvPT_PKS4_jjjS4_T1_: ; @_ZN2at6native28tensor_kernel_scan_outer_dimIhmSt10multipliesIhEEEvPT_PKS4_jjjS4_T1_
; %bb.0:
	s_load_b128 s[4:7], s[0:1], 0x10
	s_waitcnt lgkmcnt(0)
	s_cmp_ge_u32 s14, s4
	s_cbranch_scc1 .LBB8_9
; %bb.1:
	s_clause 0x2
	s_load_b32 s13, s[0:1], 0x2c
	s_load_b128 s[8:11], s[0:1], 0x0
	s_load_b32 s12, s[0:1], 0x20
	s_add_u32 s2, s0, 32
	s_addc_u32 s3, s1, 0
	s_mul_hi_u32 s16, s6, s5
	s_mul_i32 s17, s6, s5
	s_waitcnt lgkmcnt(0)
	s_and_b32 s1, s13, 0xffff
	s_cmp_lg_u32 s6, 0
	v_mad_u64_u32 v[1:2], null, s15, s1, v[0:1]
	s_cselect_b32 s13, -1, 0
	s_mov_b32 s15, s5
	s_delay_alu instid0(VALU_DEP_1)
	v_cmp_gt_u32_e64 s0, s5, v1
	s_set_inst_prefetch_distance 0x1
	s_branch .LBB8_3
	.p2align	6
.LBB8_2:                                ;   in Loop: Header=BB8_3 Depth=1
	s_or_b32 exec_lo, exec_lo, s18
	s_add_i32 s14, s14, s12
	s_delay_alu instid0(SALU_CYCLE_1)
	s_cmp_ge_u32 s14, s4
	s_cbranch_scc1 .LBB8_9
.LBB8_3:                                ; =>This Loop Header: Depth=1
                                        ;     Child Loop BB8_6 Depth 2
                                        ;       Child Loop BB8_8 Depth 3
	s_delay_alu instid0(VALU_DEP_1)
	s_and_saveexec_b32 s18, s0
	s_cbranch_execz .LBB8_2
; %bb.4:                                ;   in Loop: Header=BB8_3 Depth=1
	s_load_b32 s21, s[2:3], 0x4
	v_mov_b32_e32 v0, v1
	s_mul_i32 s20, s16, s14
	s_mul_hi_u32 s22, s17, s14
	s_mul_i32 s19, s17, s14
	s_add_i32 s20, s22, s20
	s_mov_b32 s22, 0
	s_waitcnt lgkmcnt(0)
	s_mul_i32 s21, s21, s1
	s_branch .LBB8_6
	.p2align	6
.LBB8_5:                                ;   in Loop: Header=BB8_6 Depth=2
	v_add_nc_u32_e32 v0, s21, v0
	s_delay_alu instid0(VALU_DEP_1) | instskip(SKIP_1) | instid1(SALU_CYCLE_1)
	v_cmp_le_u32_e32 vcc_lo, s5, v0
	s_or_b32 s22, vcc_lo, s22
	s_and_not1_b32 exec_lo, exec_lo, s22
	s_cbranch_execz .LBB8_2
.LBB8_6:                                ;   Parent Loop BB8_3 Depth=1
                                        ; =>  This Loop Header: Depth=2
                                        ;       Child Loop BB8_8 Depth 3
	s_and_not1_b32 vcc_lo, exec_lo, s13
	s_cbranch_vccnz .LBB8_5
; %bb.7:                                ;   in Loop: Header=BB8_6 Depth=2
	v_add_co_u32 v2, s23, s19, v0
	s_delay_alu instid0(VALU_DEP_1)
	v_add_co_ci_u32_e64 v3, null, s20, 0, s23
	v_mov_b32_e32 v4, s7
	s_mov_b32 s23, s6
	.p2align	6
.LBB8_8:                                ;   Parent Loop BB8_3 Depth=1
                                        ;     Parent Loop BB8_6 Depth=2
                                        ; =>    This Inner Loop Header: Depth=3
	s_delay_alu instid0(VALU_DEP_3) | instskip(NEXT) | instid1(VALU_DEP_3)
	v_add_co_u32 v5, vcc_lo, s10, v2
	v_add_co_ci_u32_e32 v6, vcc_lo, s11, v3, vcc_lo
	s_add_i32 s23, s23, -1
	s_delay_alu instid0(SALU_CYCLE_1)
	s_cmp_eq_u32 s23, 0
	global_load_u8 v7, v[5:6], off
	v_add_co_u32 v5, vcc_lo, s8, v2
	v_add_co_ci_u32_e32 v6, vcc_lo, s9, v3, vcc_lo
	v_add_co_u32 v2, vcc_lo, v2, s15
	v_add_co_ci_u32_e32 v3, vcc_lo, 0, v3, vcc_lo
	s_waitcnt vmcnt(0)
	v_mul_lo_u16 v4, v7, v4
	global_store_b8 v[5:6], v4, off
	s_cbranch_scc0 .LBB8_8
	s_branch .LBB8_5
.LBB8_9:
	s_set_inst_prefetch_distance 0x2
	s_nop 0
	s_sendmsg sendmsg(MSG_DEALLOC_VGPRS)
	s_endpgm
	.section	.rodata,"a",@progbits
	.p2align	6, 0x0
	.amdhsa_kernel _ZN2at6native28tensor_kernel_scan_outer_dimIhmSt10multipliesIhEEEvPT_PKS4_jjjS4_T1_
		.amdhsa_group_segment_fixed_size 0
		.amdhsa_private_segment_fixed_size 0
		.amdhsa_kernarg_size 288
		.amdhsa_user_sgpr_count 14
		.amdhsa_user_sgpr_dispatch_ptr 0
		.amdhsa_user_sgpr_queue_ptr 0
		.amdhsa_user_sgpr_kernarg_segment_ptr 1
		.amdhsa_user_sgpr_dispatch_id 0
		.amdhsa_user_sgpr_private_segment_size 0
		.amdhsa_wavefront_size32 1
		.amdhsa_uses_dynamic_stack 0
		.amdhsa_enable_private_segment 0
		.amdhsa_system_sgpr_workgroup_id_x 1
		.amdhsa_system_sgpr_workgroup_id_y 1
		.amdhsa_system_sgpr_workgroup_id_z 0
		.amdhsa_system_sgpr_workgroup_info 0
		.amdhsa_system_vgpr_workitem_id 0
		.amdhsa_next_free_vgpr 8
		.amdhsa_next_free_sgpr 24
		.amdhsa_reserve_vcc 1
		.amdhsa_float_round_mode_32 0
		.amdhsa_float_round_mode_16_64 0
		.amdhsa_float_denorm_mode_32 3
		.amdhsa_float_denorm_mode_16_64 3
		.amdhsa_dx10_clamp 1
		.amdhsa_ieee_mode 1
		.amdhsa_fp16_overflow 0
		.amdhsa_workgroup_processor_mode 1
		.amdhsa_memory_ordered 1
		.amdhsa_forward_progress 0
		.amdhsa_shared_vgpr_count 0
		.amdhsa_exception_fp_ieee_invalid_op 0
		.amdhsa_exception_fp_denorm_src 0
		.amdhsa_exception_fp_ieee_div_zero 0
		.amdhsa_exception_fp_ieee_overflow 0
		.amdhsa_exception_fp_ieee_underflow 0
		.amdhsa_exception_fp_ieee_inexact 0
		.amdhsa_exception_int_div_zero 0
	.end_amdhsa_kernel
	.section	.text._ZN2at6native28tensor_kernel_scan_outer_dimIhmSt10multipliesIhEEEvPT_PKS4_jjjS4_T1_,"axG",@progbits,_ZN2at6native28tensor_kernel_scan_outer_dimIhmSt10multipliesIhEEEvPT_PKS4_jjjS4_T1_,comdat
.Lfunc_end8:
	.size	_ZN2at6native28tensor_kernel_scan_outer_dimIhmSt10multipliesIhEEEvPT_PKS4_jjjS4_T1_, .Lfunc_end8-_ZN2at6native28tensor_kernel_scan_outer_dimIhmSt10multipliesIhEEEvPT_PKS4_jjjS4_T1_
                                        ; -- End function
	.section	.AMDGPU.csdata,"",@progbits
; Kernel info:
; codeLenInByte = 356
; NumSgprs: 26
; NumVgprs: 8
; ScratchSize: 0
; MemoryBound: 0
; FloatMode: 240
; IeeeMode: 1
; LDSByteSize: 0 bytes/workgroup (compile time only)
; SGPRBlocks: 3
; VGPRBlocks: 0
; NumSGPRsForWavesPerEU: 26
; NumVGPRsForWavesPerEU: 8
; Occupancy: 16
; WaveLimiterHint : 0
; COMPUTE_PGM_RSRC2:SCRATCH_EN: 0
; COMPUTE_PGM_RSRC2:USER_SGPR: 14
; COMPUTE_PGM_RSRC2:TRAP_HANDLER: 0
; COMPUTE_PGM_RSRC2:TGID_X_EN: 1
; COMPUTE_PGM_RSRC2:TGID_Y_EN: 1
; COMPUTE_PGM_RSRC2:TGID_Z_EN: 0
; COMPUTE_PGM_RSRC2:TIDIG_COMP_CNT: 0
	.section	.text._ZN7rocprim17ROCPRIM_304000_NS6detail31init_lookback_scan_state_kernelINS1_19lookback_scan_stateIaLb1ELb1EEEEEvT_jjPNS5_10value_typeE,"axG",@progbits,_ZN7rocprim17ROCPRIM_304000_NS6detail31init_lookback_scan_state_kernelINS1_19lookback_scan_stateIaLb1ELb1EEEEEvT_jjPNS5_10value_typeE,comdat
	.protected	_ZN7rocprim17ROCPRIM_304000_NS6detail31init_lookback_scan_state_kernelINS1_19lookback_scan_stateIaLb1ELb1EEEEEvT_jjPNS5_10value_typeE ; -- Begin function _ZN7rocprim17ROCPRIM_304000_NS6detail31init_lookback_scan_state_kernelINS1_19lookback_scan_stateIaLb1ELb1EEEEEvT_jjPNS5_10value_typeE
	.globl	_ZN7rocprim17ROCPRIM_304000_NS6detail31init_lookback_scan_state_kernelINS1_19lookback_scan_stateIaLb1ELb1EEEEEvT_jjPNS5_10value_typeE
	.p2align	8
	.type	_ZN7rocprim17ROCPRIM_304000_NS6detail31init_lookback_scan_state_kernelINS1_19lookback_scan_stateIaLb1ELb1EEEEEvT_jjPNS5_10value_typeE,@function
_ZN7rocprim17ROCPRIM_304000_NS6detail31init_lookback_scan_state_kernelINS1_19lookback_scan_stateIaLb1ELb1EEEEEvT_jjPNS5_10value_typeE: ; @_ZN7rocprim17ROCPRIM_304000_NS6detail31init_lookback_scan_state_kernelINS1_19lookback_scan_stateIaLb1ELb1EEEEEvT_jjPNS5_10value_typeE
; %bb.0:
	s_clause 0x2
	s_load_b32 s6, s[0:1], 0x24
	s_load_b64 s[4:5], s[0:1], 0x10
	s_load_b128 s[0:3], s[0:1], 0x0
	s_waitcnt lgkmcnt(0)
	s_and_b32 s6, s6, 0xffff
	s_cmp_eq_u64 s[4:5], 0
	v_mad_u64_u32 v[1:2], null, s15, s6, v[0:1]
	s_cbranch_scc1 .LBB9_8
; %bb.1:
	s_cmp_lt_u32 s3, s2
	s_mov_b32 s7, 0
	s_cselect_b32 s6, s3, 0
	s_mov_b32 s8, exec_lo
	s_delay_alu instid0(VALU_DEP_1)
	v_cmpx_eq_u32_e64 s6, v1
	s_cbranch_execz .LBB9_7
; %bb.2:
	s_add_i32 s6, s3, 32
	v_mov_b32_e32 v0, 0
	s_lshl_b64 s[6:7], s[6:7], 1
	s_mov_b32 s3, 1
	s_add_u32 s6, s0, s6
	s_addc_u32 s7, s1, s7
	global_load_u16 v2, v0, s[6:7] glc
	s_waitcnt vmcnt(0)
	v_cmp_lt_u16_e32 vcc_lo, 0xff, v2
	s_cbranch_vccnz .LBB9_6
.LBB9_3:                                ; =>This Loop Header: Depth=1
                                        ;     Child Loop BB9_4 Depth 2
	s_max_u32 s9, s3, 1
.LBB9_4:                                ;   Parent Loop BB9_3 Depth=1
                                        ; =>  This Inner Loop Header: Depth=2
	s_delay_alu instid0(SALU_CYCLE_1)
	s_add_i32 s9, s9, -1
	s_sleep 1
	s_cmp_eq_u32 s9, 0
	s_cbranch_scc0 .LBB9_4
; %bb.5:                                ;   in Loop: Header=BB9_3 Depth=1
	global_load_u16 v2, v0, s[6:7] glc
	s_cmp_lt_u32 s3, 32
	s_cselect_b32 s9, -1, 0
	s_delay_alu instid0(SALU_CYCLE_1)
	s_cmp_lg_u32 s9, 0
	s_addc_u32 s3, s3, 0
	s_waitcnt vmcnt(0)
	v_cmp_lt_u16_e32 vcc_lo, 0xff, v2
	s_cbranch_vccz .LBB9_3
.LBB9_6:
	v_mov_b32_e32 v0, 0
	global_store_b8 v0, v2, s[4:5]
.LBB9_7:
	s_or_b32 exec_lo, exec_lo, s8
.LBB9_8:
	s_delay_alu instid0(VALU_DEP_1)
	v_cmp_gt_u32_e32 vcc_lo, s2, v1
	s_and_saveexec_b32 s2, vcc_lo
	s_cbranch_execz .LBB9_10
; %bb.9:
	v_dual_mov_b32 v3, 0 :: v_dual_add_nc_u32 v2, 32, v1
	s_delay_alu instid0(VALU_DEP_1) | instskip(NEXT) | instid1(VALU_DEP_1)
	v_lshlrev_b64 v[4:5], 1, v[2:3]
	v_add_co_u32 v4, vcc_lo, s0, v4
	s_delay_alu instid0(VALU_DEP_2)
	v_add_co_ci_u32_e32 v5, vcc_lo, s1, v5, vcc_lo
	global_store_b16 v[4:5], v3, off
.LBB9_10:
	s_or_b32 exec_lo, exec_lo, s2
	s_delay_alu instid0(SALU_CYCLE_1)
	s_mov_b32 s2, exec_lo
	v_cmpx_gt_u32_e32 32, v1
	s_cbranch_execz .LBB9_12
; %bb.11:
	v_mov_b32_e32 v2, 0
	s_delay_alu instid0(VALU_DEP_1) | instskip(SKIP_1) | instid1(VALU_DEP_2)
	v_lshlrev_b64 v[0:1], 1, v[1:2]
	v_mov_b32_e32 v2, 0xffffff00
	v_add_co_u32 v0, vcc_lo, s0, v0
	s_delay_alu instid0(VALU_DEP_3)
	v_add_co_ci_u32_e32 v1, vcc_lo, s1, v1, vcc_lo
	global_store_b16 v[0:1], v2, off
.LBB9_12:
	s_nop 0
	s_sendmsg sendmsg(MSG_DEALLOC_VGPRS)
	s_endpgm
	.section	.rodata,"a",@progbits
	.p2align	6, 0x0
	.amdhsa_kernel _ZN7rocprim17ROCPRIM_304000_NS6detail31init_lookback_scan_state_kernelINS1_19lookback_scan_stateIaLb1ELb1EEEEEvT_jjPNS5_10value_typeE
		.amdhsa_group_segment_fixed_size 0
		.amdhsa_private_segment_fixed_size 0
		.amdhsa_kernarg_size 280
		.amdhsa_user_sgpr_count 15
		.amdhsa_user_sgpr_dispatch_ptr 0
		.amdhsa_user_sgpr_queue_ptr 0
		.amdhsa_user_sgpr_kernarg_segment_ptr 1
		.amdhsa_user_sgpr_dispatch_id 0
		.amdhsa_user_sgpr_private_segment_size 0
		.amdhsa_wavefront_size32 1
		.amdhsa_uses_dynamic_stack 0
		.amdhsa_enable_private_segment 0
		.amdhsa_system_sgpr_workgroup_id_x 1
		.amdhsa_system_sgpr_workgroup_id_y 0
		.amdhsa_system_sgpr_workgroup_id_z 0
		.amdhsa_system_sgpr_workgroup_info 0
		.amdhsa_system_vgpr_workitem_id 0
		.amdhsa_next_free_vgpr 6
		.amdhsa_next_free_sgpr 16
		.amdhsa_reserve_vcc 1
		.amdhsa_float_round_mode_32 0
		.amdhsa_float_round_mode_16_64 0
		.amdhsa_float_denorm_mode_32 3
		.amdhsa_float_denorm_mode_16_64 3
		.amdhsa_dx10_clamp 1
		.amdhsa_ieee_mode 1
		.amdhsa_fp16_overflow 0
		.amdhsa_workgroup_processor_mode 1
		.amdhsa_memory_ordered 1
		.amdhsa_forward_progress 0
		.amdhsa_shared_vgpr_count 0
		.amdhsa_exception_fp_ieee_invalid_op 0
		.amdhsa_exception_fp_denorm_src 0
		.amdhsa_exception_fp_ieee_div_zero 0
		.amdhsa_exception_fp_ieee_overflow 0
		.amdhsa_exception_fp_ieee_underflow 0
		.amdhsa_exception_fp_ieee_inexact 0
		.amdhsa_exception_int_div_zero 0
	.end_amdhsa_kernel
	.section	.text._ZN7rocprim17ROCPRIM_304000_NS6detail31init_lookback_scan_state_kernelINS1_19lookback_scan_stateIaLb1ELb1EEEEEvT_jjPNS5_10value_typeE,"axG",@progbits,_ZN7rocprim17ROCPRIM_304000_NS6detail31init_lookback_scan_state_kernelINS1_19lookback_scan_stateIaLb1ELb1EEEEEvT_jjPNS5_10value_typeE,comdat
.Lfunc_end9:
	.size	_ZN7rocprim17ROCPRIM_304000_NS6detail31init_lookback_scan_state_kernelINS1_19lookback_scan_stateIaLb1ELb1EEEEEvT_jjPNS5_10value_typeE, .Lfunc_end9-_ZN7rocprim17ROCPRIM_304000_NS6detail31init_lookback_scan_state_kernelINS1_19lookback_scan_stateIaLb1ELb1EEEEEvT_jjPNS5_10value_typeE
                                        ; -- End function
	.section	.AMDGPU.csdata,"",@progbits
; Kernel info:
; codeLenInByte = 360
; NumSgprs: 18
; NumVgprs: 6
; ScratchSize: 0
; MemoryBound: 0
; FloatMode: 240
; IeeeMode: 1
; LDSByteSize: 0 bytes/workgroup (compile time only)
; SGPRBlocks: 2
; VGPRBlocks: 0
; NumSGPRsForWavesPerEU: 18
; NumVGPRsForWavesPerEU: 6
; Occupancy: 16
; WaveLimiterHint : 0
; COMPUTE_PGM_RSRC2:SCRATCH_EN: 0
; COMPUTE_PGM_RSRC2:USER_SGPR: 15
; COMPUTE_PGM_RSRC2:TRAP_HANDLER: 0
; COMPUTE_PGM_RSRC2:TGID_X_EN: 1
; COMPUTE_PGM_RSRC2:TGID_Y_EN: 0
; COMPUTE_PGM_RSRC2:TGID_Z_EN: 0
; COMPUTE_PGM_RSRC2:TIDIG_COMP_CNT: 0
	.section	.text._ZN7rocprim17ROCPRIM_304000_NS6detail31init_lookback_scan_state_kernelINS1_19lookback_scan_stateIaLb0ELb1EEEEEvT_jjPNS5_10value_typeE,"axG",@progbits,_ZN7rocprim17ROCPRIM_304000_NS6detail31init_lookback_scan_state_kernelINS1_19lookback_scan_stateIaLb0ELb1EEEEEvT_jjPNS5_10value_typeE,comdat
	.protected	_ZN7rocprim17ROCPRIM_304000_NS6detail31init_lookback_scan_state_kernelINS1_19lookback_scan_stateIaLb0ELb1EEEEEvT_jjPNS5_10value_typeE ; -- Begin function _ZN7rocprim17ROCPRIM_304000_NS6detail31init_lookback_scan_state_kernelINS1_19lookback_scan_stateIaLb0ELb1EEEEEvT_jjPNS5_10value_typeE
	.globl	_ZN7rocprim17ROCPRIM_304000_NS6detail31init_lookback_scan_state_kernelINS1_19lookback_scan_stateIaLb0ELb1EEEEEvT_jjPNS5_10value_typeE
	.p2align	8
	.type	_ZN7rocprim17ROCPRIM_304000_NS6detail31init_lookback_scan_state_kernelINS1_19lookback_scan_stateIaLb0ELb1EEEEEvT_jjPNS5_10value_typeE,@function
_ZN7rocprim17ROCPRIM_304000_NS6detail31init_lookback_scan_state_kernelINS1_19lookback_scan_stateIaLb0ELb1EEEEEvT_jjPNS5_10value_typeE: ; @_ZN7rocprim17ROCPRIM_304000_NS6detail31init_lookback_scan_state_kernelINS1_19lookback_scan_stateIaLb0ELb1EEEEEvT_jjPNS5_10value_typeE
; %bb.0:
	s_clause 0x2
	s_load_b32 s6, s[0:1], 0x24
	s_load_b64 s[4:5], s[0:1], 0x10
	s_load_b128 s[0:3], s[0:1], 0x0
	s_waitcnt lgkmcnt(0)
	s_and_b32 s6, s6, 0xffff
	s_cmp_eq_u64 s[4:5], 0
	v_mad_u64_u32 v[1:2], null, s15, s6, v[0:1]
	s_cbranch_scc1 .LBB10_6
; %bb.1:
	s_cmp_lt_u32 s3, s2
	s_mov_b32 s7, 0
	s_cselect_b32 s6, s3, 0
	s_mov_b32 s8, exec_lo
	s_delay_alu instid0(VALU_DEP_1)
	v_cmpx_eq_u32_e64 s6, v1
	s_cbranch_execz .LBB10_5
; %bb.2:
	s_add_i32 s6, s3, 32
	v_mov_b32_e32 v2, 0
	s_lshl_b64 s[6:7], s[6:7], 1
	s_delay_alu instid0(SALU_CYCLE_1)
	s_add_u32 s6, s0, s6
	s_addc_u32 s7, s1, s7
	global_load_u16 v0, v2, s[6:7] glc
	s_waitcnt vmcnt(0)
	v_cmp_lt_u16_e32 vcc_lo, 0xff, v0
	s_cbranch_vccnz .LBB10_4
.LBB10_3:                               ; =>This Inner Loop Header: Depth=1
	global_load_u16 v0, v2, s[6:7] glc
	s_waitcnt vmcnt(0)
	v_cmp_gt_u16_e32 vcc_lo, 0x100, v0
	s_cbranch_vccnz .LBB10_3
.LBB10_4:
	v_mov_b32_e32 v2, 0
	global_store_b8 v2, v0, s[4:5]
.LBB10_5:
	s_or_b32 exec_lo, exec_lo, s8
.LBB10_6:
	s_delay_alu instid0(VALU_DEP_1)
	v_cmp_gt_u32_e32 vcc_lo, s2, v1
	s_and_saveexec_b32 s2, vcc_lo
	s_cbranch_execz .LBB10_8
; %bb.7:
	v_dual_mov_b32 v3, 0 :: v_dual_add_nc_u32 v2, 32, v1
	s_delay_alu instid0(VALU_DEP_1) | instskip(NEXT) | instid1(VALU_DEP_1)
	v_lshlrev_b64 v[4:5], 1, v[2:3]
	v_add_co_u32 v4, vcc_lo, s0, v4
	s_delay_alu instid0(VALU_DEP_2)
	v_add_co_ci_u32_e32 v5, vcc_lo, s1, v5, vcc_lo
	global_store_b16 v[4:5], v3, off
.LBB10_8:
	s_or_b32 exec_lo, exec_lo, s2
	s_delay_alu instid0(SALU_CYCLE_1)
	s_mov_b32 s2, exec_lo
	v_cmpx_gt_u32_e32 32, v1
	s_cbranch_execz .LBB10_10
; %bb.9:
	v_mov_b32_e32 v2, 0
	s_delay_alu instid0(VALU_DEP_1) | instskip(SKIP_1) | instid1(VALU_DEP_2)
	v_lshlrev_b64 v[0:1], 1, v[1:2]
	v_mov_b32_e32 v2, 0xffffff00
	v_add_co_u32 v0, vcc_lo, s0, v0
	s_delay_alu instid0(VALU_DEP_3)
	v_add_co_ci_u32_e32 v1, vcc_lo, s1, v1, vcc_lo
	global_store_b16 v[0:1], v2, off
.LBB10_10:
	s_nop 0
	s_sendmsg sendmsg(MSG_DEALLOC_VGPRS)
	s_endpgm
	.section	.rodata,"a",@progbits
	.p2align	6, 0x0
	.amdhsa_kernel _ZN7rocprim17ROCPRIM_304000_NS6detail31init_lookback_scan_state_kernelINS1_19lookback_scan_stateIaLb0ELb1EEEEEvT_jjPNS5_10value_typeE
		.amdhsa_group_segment_fixed_size 0
		.amdhsa_private_segment_fixed_size 0
		.amdhsa_kernarg_size 280
		.amdhsa_user_sgpr_count 15
		.amdhsa_user_sgpr_dispatch_ptr 0
		.amdhsa_user_sgpr_queue_ptr 0
		.amdhsa_user_sgpr_kernarg_segment_ptr 1
		.amdhsa_user_sgpr_dispatch_id 0
		.amdhsa_user_sgpr_private_segment_size 0
		.amdhsa_wavefront_size32 1
		.amdhsa_uses_dynamic_stack 0
		.amdhsa_enable_private_segment 0
		.amdhsa_system_sgpr_workgroup_id_x 1
		.amdhsa_system_sgpr_workgroup_id_y 0
		.amdhsa_system_sgpr_workgroup_id_z 0
		.amdhsa_system_sgpr_workgroup_info 0
		.amdhsa_system_vgpr_workitem_id 0
		.amdhsa_next_free_vgpr 6
		.amdhsa_next_free_sgpr 16
		.amdhsa_reserve_vcc 1
		.amdhsa_float_round_mode_32 0
		.amdhsa_float_round_mode_16_64 0
		.amdhsa_float_denorm_mode_32 3
		.amdhsa_float_denorm_mode_16_64 3
		.amdhsa_dx10_clamp 1
		.amdhsa_ieee_mode 1
		.amdhsa_fp16_overflow 0
		.amdhsa_workgroup_processor_mode 1
		.amdhsa_memory_ordered 1
		.amdhsa_forward_progress 0
		.amdhsa_shared_vgpr_count 0
		.amdhsa_exception_fp_ieee_invalid_op 0
		.amdhsa_exception_fp_denorm_src 0
		.amdhsa_exception_fp_ieee_div_zero 0
		.amdhsa_exception_fp_ieee_overflow 0
		.amdhsa_exception_fp_ieee_underflow 0
		.amdhsa_exception_fp_ieee_inexact 0
		.amdhsa_exception_int_div_zero 0
	.end_amdhsa_kernel
	.section	.text._ZN7rocprim17ROCPRIM_304000_NS6detail31init_lookback_scan_state_kernelINS1_19lookback_scan_stateIaLb0ELb1EEEEEvT_jjPNS5_10value_typeE,"axG",@progbits,_ZN7rocprim17ROCPRIM_304000_NS6detail31init_lookback_scan_state_kernelINS1_19lookback_scan_stateIaLb0ELb1EEEEEvT_jjPNS5_10value_typeE,comdat
.Lfunc_end10:
	.size	_ZN7rocprim17ROCPRIM_304000_NS6detail31init_lookback_scan_state_kernelINS1_19lookback_scan_stateIaLb0ELb1EEEEEvT_jjPNS5_10value_typeE, .Lfunc_end10-_ZN7rocprim17ROCPRIM_304000_NS6detail31init_lookback_scan_state_kernelINS1_19lookback_scan_stateIaLb0ELb1EEEEEvT_jjPNS5_10value_typeE
                                        ; -- End function
	.section	.AMDGPU.csdata,"",@progbits
; Kernel info:
; codeLenInByte = 316
; NumSgprs: 18
; NumVgprs: 6
; ScratchSize: 0
; MemoryBound: 0
; FloatMode: 240
; IeeeMode: 1
; LDSByteSize: 0 bytes/workgroup (compile time only)
; SGPRBlocks: 2
; VGPRBlocks: 0
; NumSGPRsForWavesPerEU: 18
; NumVGPRsForWavesPerEU: 6
; Occupancy: 16
; WaveLimiterHint : 0
; COMPUTE_PGM_RSRC2:SCRATCH_EN: 0
; COMPUTE_PGM_RSRC2:USER_SGPR: 15
; COMPUTE_PGM_RSRC2:TRAP_HANDLER: 0
; COMPUTE_PGM_RSRC2:TGID_X_EN: 1
; COMPUTE_PGM_RSRC2:TGID_Y_EN: 0
; COMPUTE_PGM_RSRC2:TGID_Z_EN: 0
; COMPUTE_PGM_RSRC2:TIDIG_COMP_CNT: 0
	.section	.text._ZN7rocprim17ROCPRIM_304000_NS6detail20lookback_scan_kernelILNS1_25lookback_scan_determinismE0ELb0ENS1_19wrapped_scan_configINS0_14default_configEaEEPKaPaSt10multipliesIaEaaNS1_19lookback_scan_stateIaLb1ELb1EEEEEvT2_T3_mT5_T4_T7_jPT6_SK_bb,"axG",@progbits,_ZN7rocprim17ROCPRIM_304000_NS6detail20lookback_scan_kernelILNS1_25lookback_scan_determinismE0ELb0ENS1_19wrapped_scan_configINS0_14default_configEaEEPKaPaSt10multipliesIaEaaNS1_19lookback_scan_stateIaLb1ELb1EEEEEvT2_T3_mT5_T4_T7_jPT6_SK_bb,comdat
	.protected	_ZN7rocprim17ROCPRIM_304000_NS6detail20lookback_scan_kernelILNS1_25lookback_scan_determinismE0ELb0ENS1_19wrapped_scan_configINS0_14default_configEaEEPKaPaSt10multipliesIaEaaNS1_19lookback_scan_stateIaLb1ELb1EEEEEvT2_T3_mT5_T4_T7_jPT6_SK_bb ; -- Begin function _ZN7rocprim17ROCPRIM_304000_NS6detail20lookback_scan_kernelILNS1_25lookback_scan_determinismE0ELb0ENS1_19wrapped_scan_configINS0_14default_configEaEEPKaPaSt10multipliesIaEaaNS1_19lookback_scan_stateIaLb1ELb1EEEEEvT2_T3_mT5_T4_T7_jPT6_SK_bb
	.globl	_ZN7rocprim17ROCPRIM_304000_NS6detail20lookback_scan_kernelILNS1_25lookback_scan_determinismE0ELb0ENS1_19wrapped_scan_configINS0_14default_configEaEEPKaPaSt10multipliesIaEaaNS1_19lookback_scan_stateIaLb1ELb1EEEEEvT2_T3_mT5_T4_T7_jPT6_SK_bb
	.p2align	8
	.type	_ZN7rocprim17ROCPRIM_304000_NS6detail20lookback_scan_kernelILNS1_25lookback_scan_determinismE0ELb0ENS1_19wrapped_scan_configINS0_14default_configEaEEPKaPaSt10multipliesIaEaaNS1_19lookback_scan_stateIaLb1ELb1EEEEEvT2_T3_mT5_T4_T7_jPT6_SK_bb,@function
_ZN7rocprim17ROCPRIM_304000_NS6detail20lookback_scan_kernelILNS1_25lookback_scan_determinismE0ELb0ENS1_19wrapped_scan_configINS0_14default_configEaEEPKaPaSt10multipliesIaEaaNS1_19lookback_scan_stateIaLb1ELb1EEEEEvT2_T3_mT5_T4_T7_jPT6_SK_bb: ; @_ZN7rocprim17ROCPRIM_304000_NS6detail20lookback_scan_kernelILNS1_25lookback_scan_determinismE0ELb0ENS1_19wrapped_scan_configINS0_14default_configEaEEPKaPaSt10multipliesIaEaaNS1_19lookback_scan_stateIaLb1ELb1EEEEEvT2_T3_mT5_T4_T7_jPT6_SK_bb
; %bb.0:
	s_endpgm
	.section	.rodata,"a",@progbits
	.p2align	6, 0x0
	.amdhsa_kernel _ZN7rocprim17ROCPRIM_304000_NS6detail20lookback_scan_kernelILNS1_25lookback_scan_determinismE0ELb0ENS1_19wrapped_scan_configINS0_14default_configEaEEPKaPaSt10multipliesIaEaaNS1_19lookback_scan_stateIaLb1ELb1EEEEEvT2_T3_mT5_T4_T7_jPT6_SK_bb
		.amdhsa_group_segment_fixed_size 0
		.amdhsa_private_segment_fixed_size 0
		.amdhsa_kernarg_size 68
		.amdhsa_user_sgpr_count 15
		.amdhsa_user_sgpr_dispatch_ptr 0
		.amdhsa_user_sgpr_queue_ptr 0
		.amdhsa_user_sgpr_kernarg_segment_ptr 1
		.amdhsa_user_sgpr_dispatch_id 0
		.amdhsa_user_sgpr_private_segment_size 0
		.amdhsa_wavefront_size32 1
		.amdhsa_uses_dynamic_stack 0
		.amdhsa_enable_private_segment 0
		.amdhsa_system_sgpr_workgroup_id_x 1
		.amdhsa_system_sgpr_workgroup_id_y 0
		.amdhsa_system_sgpr_workgroup_id_z 0
		.amdhsa_system_sgpr_workgroup_info 0
		.amdhsa_system_vgpr_workitem_id 0
		.amdhsa_next_free_vgpr 1
		.amdhsa_next_free_sgpr 1
		.amdhsa_reserve_vcc 0
		.amdhsa_float_round_mode_32 0
		.amdhsa_float_round_mode_16_64 0
		.amdhsa_float_denorm_mode_32 3
		.amdhsa_float_denorm_mode_16_64 3
		.amdhsa_dx10_clamp 1
		.amdhsa_ieee_mode 1
		.amdhsa_fp16_overflow 0
		.amdhsa_workgroup_processor_mode 1
		.amdhsa_memory_ordered 1
		.amdhsa_forward_progress 0
		.amdhsa_shared_vgpr_count 0
		.amdhsa_exception_fp_ieee_invalid_op 0
		.amdhsa_exception_fp_denorm_src 0
		.amdhsa_exception_fp_ieee_div_zero 0
		.amdhsa_exception_fp_ieee_overflow 0
		.amdhsa_exception_fp_ieee_underflow 0
		.amdhsa_exception_fp_ieee_inexact 0
		.amdhsa_exception_int_div_zero 0
	.end_amdhsa_kernel
	.section	.text._ZN7rocprim17ROCPRIM_304000_NS6detail20lookback_scan_kernelILNS1_25lookback_scan_determinismE0ELb0ENS1_19wrapped_scan_configINS0_14default_configEaEEPKaPaSt10multipliesIaEaaNS1_19lookback_scan_stateIaLb1ELb1EEEEEvT2_T3_mT5_T4_T7_jPT6_SK_bb,"axG",@progbits,_ZN7rocprim17ROCPRIM_304000_NS6detail20lookback_scan_kernelILNS1_25lookback_scan_determinismE0ELb0ENS1_19wrapped_scan_configINS0_14default_configEaEEPKaPaSt10multipliesIaEaaNS1_19lookback_scan_stateIaLb1ELb1EEEEEvT2_T3_mT5_T4_T7_jPT6_SK_bb,comdat
.Lfunc_end11:
	.size	_ZN7rocprim17ROCPRIM_304000_NS6detail20lookback_scan_kernelILNS1_25lookback_scan_determinismE0ELb0ENS1_19wrapped_scan_configINS0_14default_configEaEEPKaPaSt10multipliesIaEaaNS1_19lookback_scan_stateIaLb1ELb1EEEEEvT2_T3_mT5_T4_T7_jPT6_SK_bb, .Lfunc_end11-_ZN7rocprim17ROCPRIM_304000_NS6detail20lookback_scan_kernelILNS1_25lookback_scan_determinismE0ELb0ENS1_19wrapped_scan_configINS0_14default_configEaEEPKaPaSt10multipliesIaEaaNS1_19lookback_scan_stateIaLb1ELb1EEEEEvT2_T3_mT5_T4_T7_jPT6_SK_bb
                                        ; -- End function
	.section	.AMDGPU.csdata,"",@progbits
; Kernel info:
; codeLenInByte = 4
; NumSgprs: 0
; NumVgprs: 0
; ScratchSize: 0
; MemoryBound: 0
; FloatMode: 240
; IeeeMode: 1
; LDSByteSize: 0 bytes/workgroup (compile time only)
; SGPRBlocks: 0
; VGPRBlocks: 0
; NumSGPRsForWavesPerEU: 1
; NumVGPRsForWavesPerEU: 1
; Occupancy: 16
; WaveLimiterHint : 0
; COMPUTE_PGM_RSRC2:SCRATCH_EN: 0
; COMPUTE_PGM_RSRC2:USER_SGPR: 15
; COMPUTE_PGM_RSRC2:TRAP_HANDLER: 0
; COMPUTE_PGM_RSRC2:TGID_X_EN: 1
; COMPUTE_PGM_RSRC2:TGID_Y_EN: 0
; COMPUTE_PGM_RSRC2:TGID_Z_EN: 0
; COMPUTE_PGM_RSRC2:TIDIG_COMP_CNT: 0
	.section	.text._ZN7rocprim17ROCPRIM_304000_NS6detail20lookback_scan_kernelILNS1_25lookback_scan_determinismE0ELb0ENS1_19wrapped_scan_configINS0_14default_configEaEEPKaPaSt10multipliesIaEaaNS1_19lookback_scan_stateIaLb0ELb1EEEEEvT2_T3_mT5_T4_T7_jPT6_SK_bb,"axG",@progbits,_ZN7rocprim17ROCPRIM_304000_NS6detail20lookback_scan_kernelILNS1_25lookback_scan_determinismE0ELb0ENS1_19wrapped_scan_configINS0_14default_configEaEEPKaPaSt10multipliesIaEaaNS1_19lookback_scan_stateIaLb0ELb1EEEEEvT2_T3_mT5_T4_T7_jPT6_SK_bb,comdat
	.protected	_ZN7rocprim17ROCPRIM_304000_NS6detail20lookback_scan_kernelILNS1_25lookback_scan_determinismE0ELb0ENS1_19wrapped_scan_configINS0_14default_configEaEEPKaPaSt10multipliesIaEaaNS1_19lookback_scan_stateIaLb0ELb1EEEEEvT2_T3_mT5_T4_T7_jPT6_SK_bb ; -- Begin function _ZN7rocprim17ROCPRIM_304000_NS6detail20lookback_scan_kernelILNS1_25lookback_scan_determinismE0ELb0ENS1_19wrapped_scan_configINS0_14default_configEaEEPKaPaSt10multipliesIaEaaNS1_19lookback_scan_stateIaLb0ELb1EEEEEvT2_T3_mT5_T4_T7_jPT6_SK_bb
	.globl	_ZN7rocprim17ROCPRIM_304000_NS6detail20lookback_scan_kernelILNS1_25lookback_scan_determinismE0ELb0ENS1_19wrapped_scan_configINS0_14default_configEaEEPKaPaSt10multipliesIaEaaNS1_19lookback_scan_stateIaLb0ELb1EEEEEvT2_T3_mT5_T4_T7_jPT6_SK_bb
	.p2align	8
	.type	_ZN7rocprim17ROCPRIM_304000_NS6detail20lookback_scan_kernelILNS1_25lookback_scan_determinismE0ELb0ENS1_19wrapped_scan_configINS0_14default_configEaEEPKaPaSt10multipliesIaEaaNS1_19lookback_scan_stateIaLb0ELb1EEEEEvT2_T3_mT5_T4_T7_jPT6_SK_bb,@function
_ZN7rocprim17ROCPRIM_304000_NS6detail20lookback_scan_kernelILNS1_25lookback_scan_determinismE0ELb0ENS1_19wrapped_scan_configINS0_14default_configEaEEPKaPaSt10multipliesIaEaaNS1_19lookback_scan_stateIaLb0ELb1EEEEEvT2_T3_mT5_T4_T7_jPT6_SK_bb: ; @_ZN7rocprim17ROCPRIM_304000_NS6detail20lookback_scan_kernelILNS1_25lookback_scan_determinismE0ELb0ENS1_19wrapped_scan_configINS0_14default_configEaEEPKaPaSt10multipliesIaEaaNS1_19lookback_scan_stateIaLb0ELb1EEEEEvT2_T3_mT5_T4_T7_jPT6_SK_bb
; %bb.0:
	s_clause 0x2
	s_load_b32 s4, s[0:1], 0x28
	s_load_b64 s[2:3], s[0:1], 0x10
	s_load_b128 s[8:11], s[0:1], 0x0
	s_mul_i32 s16, s15, 0x1800
	s_waitcnt lgkmcnt(0)
	s_add_i32 s4, s4, -1
	s_delay_alu instid0(SALU_CYCLE_1) | instskip(NEXT) | instid1(SALU_CYCLE_1)
	s_mul_i32 s5, s4, 0x1800
	s_sub_u32 s12, s2, s5
	s_subb_u32 s13, s3, 0
	s_cmp_lg_u32 s15, s4
	s_mov_b32 s3, -1
	s_cselect_b32 s14, -1, 0
	s_add_u32 s4, s8, s16
	s_addc_u32 s5, s9, 0
	s_and_b32 vcc_lo, exec_lo, s14
	s_cbranch_vccz .LBB12_2
; %bb.1:
	v_add_co_u32 v1, s2, s4, v0
	s_delay_alu instid0(VALU_DEP_1)
	v_add_co_ci_u32_e64 v2, null, s5, 0, s2
	s_clause 0x7
	global_load_u8 v3, v0, s[4:5]
	global_load_u8 v4, v0, s[4:5] offset:256
	global_load_u8 v5, v0, s[4:5] offset:512
	;; [unrolled: 1-line block ×7, first 2 shown]
	v_add_co_u32 v1, vcc_lo, 0x1000, v1
	v_add_co_ci_u32_e32 v2, vcc_lo, 0, v2, vcc_lo
	s_clause 0xf
	global_load_u8 v11, v0, s[4:5] offset:2048
	global_load_u8 v12, v0, s[4:5] offset:2304
	;; [unrolled: 1-line block ×8, first 2 shown]
	global_load_u8 v19, v[1:2], off
	global_load_u8 v20, v[1:2], off offset:256
	global_load_u8 v21, v[1:2], off offset:512
	;; [unrolled: 1-line block ×7, first 2 shown]
	s_mov_b32 s3, 0
	s_waitcnt vmcnt(23)
	ds_store_b8 v0, v3
	s_waitcnt vmcnt(22)
	ds_store_b8 v0, v4 offset:256
	s_waitcnt vmcnt(21)
	ds_store_b8 v0, v5 offset:512
	;; [unrolled: 2-line block ×23, first 2 shown]
	s_waitcnt lgkmcnt(0)
	s_barrier
.LBB12_2:
	v_cmp_gt_u32_e64 s2, s12, v0
	s_and_not1_b32 vcc_lo, exec_lo, s3
	s_cbranch_vccnz .LBB12_52
; %bb.3:
	v_mov_b32_e32 v1, 0
	global_load_u8 v3, v1, s[4:5]
	v_add_co_u32 v1, s3, s4, v0
	s_delay_alu instid0(VALU_DEP_1)
	v_add_co_ci_u32_e64 v2, null, s5, 0, s3
	s_waitcnt vmcnt(0)
	v_mov_b32_e32 v4, v3
	s_and_saveexec_b32 s3, s2
	s_cbranch_execz .LBB12_5
; %bb.4:
	global_load_u8 v4, v[1:2], off
.LBB12_5:
	s_or_b32 exec_lo, exec_lo, s3
	v_or_b32_e32 v5, 0x100, v0
	s_delay_alu instid0(VALU_DEP_1)
	v_cmp_gt_u32_e32 vcc_lo, s12, v5
	v_mov_b32_e32 v5, v3
	s_and_saveexec_b32 s2, vcc_lo
	s_cbranch_execz .LBB12_7
; %bb.6:
	global_load_u8 v5, v[1:2], off offset:256
.LBB12_7:
	s_or_b32 exec_lo, exec_lo, s2
	v_or_b32_e32 v6, 0x200, v0
	s_delay_alu instid0(VALU_DEP_1)
	v_cmp_gt_u32_e32 vcc_lo, s12, v6
	v_mov_b32_e32 v6, v3
	s_and_saveexec_b32 s2, vcc_lo
	s_cbranch_execz .LBB12_9
; %bb.8:
	global_load_u8 v6, v[1:2], off offset:512
.LBB12_9:
	;; [unrolled: 10-line block ×15, first 2 shown]
	s_or_b32 exec_lo, exec_lo, s2
	v_or_b32_e32 v20, 0x1000, v0
	s_delay_alu instid0(VALU_DEP_1)
	v_cmp_gt_u32_e32 vcc_lo, s12, v20
	v_mov_b32_e32 v20, v3
	s_and_saveexec_b32 s2, vcc_lo
	s_cbranch_execz .LBB12_37
; %bb.36:
	v_add_co_u32 v20, vcc_lo, 0x1000, v1
	v_add_co_ci_u32_e32 v21, vcc_lo, 0, v2, vcc_lo
	global_load_u8 v20, v[20:21], off
.LBB12_37:
	s_or_b32 exec_lo, exec_lo, s2
	v_or_b32_e32 v21, 0x1100, v0
	s_delay_alu instid0(VALU_DEP_1)
	v_cmp_gt_u32_e32 vcc_lo, s12, v21
	v_mov_b32_e32 v21, v3
	s_and_saveexec_b32 s2, vcc_lo
	s_cbranch_execz .LBB12_39
; %bb.38:
	v_add_co_u32 v21, vcc_lo, 0x1000, v1
	v_add_co_ci_u32_e32 v22, vcc_lo, 0, v2, vcc_lo
	global_load_u8 v21, v[21:22], off offset:256
.LBB12_39:
	s_or_b32 exec_lo, exec_lo, s2
	v_or_b32_e32 v22, 0x1200, v0
	s_delay_alu instid0(VALU_DEP_1)
	v_cmp_gt_u32_e32 vcc_lo, s12, v22
	v_mov_b32_e32 v22, v3
	s_and_saveexec_b32 s2, vcc_lo
	s_cbranch_execz .LBB12_41
; %bb.40:
	v_add_co_u32 v22, vcc_lo, 0x1000, v1
	v_add_co_ci_u32_e32 v23, vcc_lo, 0, v2, vcc_lo
	global_load_u8 v22, v[22:23], off offset:512
.LBB12_41:
	;; [unrolled: 12-line block ×6, first 2 shown]
	s_or_b32 exec_lo, exec_lo, s2
	v_or_b32_e32 v27, 0x1700, v0
	s_mov_b32 s2, exec_lo
	s_delay_alu instid0(VALU_DEP_1)
	v_cmpx_gt_u32_e64 s12, v27
	s_cbranch_execz .LBB12_51
; %bb.50:
	v_add_co_u32 v1, vcc_lo, 0x1000, v1
	v_add_co_ci_u32_e32 v2, vcc_lo, 0, v2, vcc_lo
	global_load_u8 v3, v[1:2], off offset:1792
.LBB12_51:
	s_or_b32 exec_lo, exec_lo, s2
	s_waitcnt vmcnt(0)
	ds_store_b8 v0, v4
	ds_store_b8 v0, v5 offset:256
	ds_store_b8 v0, v6 offset:512
	;; [unrolled: 1-line block ×23, first 2 shown]
	s_waitcnt lgkmcnt(0)
	s_barrier
.LBB12_52:
	v_mul_u32_u24_e32 v11, 24, v0
	buffer_gl0_inv
	s_load_b64 s[8:9], s[0:1], 0x20
	v_mbcnt_lo_u32_b32 v30, -1, 0
	v_lshrrev_b32_e32 v31, 5, v0
	ds_load_2addr_b64 v[1:4], v11 offset1:1
	ds_load_b64 v[5:6], v11 offset:16
	v_or_b32_e32 v32, 31, v0
	s_cmp_lg_u32 s15, 0
	s_waitcnt lgkmcnt(0)
	s_barrier
	buffer_gl0_inv
	v_lshrrev_b32_e32 v27, 8, v1
	v_lshrrev_b32_e32 v28, 16, v1
	;; [unrolled: 1-line block ×18, first 2 shown]
	s_cbranch_scc0 .LBB12_78
; %bb.53:
	v_mul_lo_u16 v7, v27, v1
	s_mov_b32 s2, exec_lo
	s_delay_alu instid0(VALU_DEP_1) | instskip(NEXT) | instid1(VALU_DEP_1)
	v_mul_lo_u16 v7, v7, v28
	v_mul_lo_u16 v7, v7, v29
	s_delay_alu instid0(VALU_DEP_1) | instskip(NEXT) | instid1(VALU_DEP_1)
	v_mul_lo_u16 v7, v7, v2
	v_mul_lo_u16 v7, v7, v24
	;; [unrolled: 3-line block ×11, first 2 shown]
	s_delay_alu instid0(VALU_DEP_1) | instskip(NEXT) | instid1(VALU_DEP_1)
	v_and_b32_e32 v8, 0xff, v7
	v_mov_b32_dpp v9, v8 row_shr:1 row_mask:0xf bank_mask:0xf
	s_delay_alu instid0(VALU_DEP_1) | instskip(SKIP_1) | instid1(VALU_DEP_2)
	v_mul_lo_u16 v9, v7, v9
	v_and_b32_e32 v10, 15, v30
	v_and_b32_e32 v33, 0xff, v9
	s_delay_alu instid0(VALU_DEP_2) | instskip(NEXT) | instid1(VALU_DEP_2)
	v_cmp_eq_u32_e32 vcc_lo, 0, v10
	v_cndmask_b32_e32 v8, v33, v8, vcc_lo
	v_cndmask_b32_e32 v7, v9, v7, vcc_lo
	v_cmp_lt_u32_e32 vcc_lo, 1, v10
	s_delay_alu instid0(VALU_DEP_3) | instskip(NEXT) | instid1(VALU_DEP_1)
	v_mov_b32_dpp v9, v8 row_shr:2 row_mask:0xf bank_mask:0xf
	v_mul_lo_u16 v9, v7, v9
	s_delay_alu instid0(VALU_DEP_1) | instskip(SKIP_1) | instid1(VALU_DEP_2)
	v_and_b32_e32 v33, 0xff, v9
	v_cndmask_b32_e32 v7, v7, v9, vcc_lo
	v_cndmask_b32_e32 v8, v8, v33, vcc_lo
	v_cmp_lt_u32_e32 vcc_lo, 3, v10
	s_delay_alu instid0(VALU_DEP_2) | instskip(NEXT) | instid1(VALU_DEP_1)
	v_mov_b32_dpp v9, v8 row_shr:4 row_mask:0xf bank_mask:0xf
	v_mul_lo_u16 v9, v7, v9
	s_delay_alu instid0(VALU_DEP_1) | instskip(SKIP_1) | instid1(VALU_DEP_2)
	v_and_b32_e32 v33, 0xff, v9
	v_cndmask_b32_e32 v7, v7, v9, vcc_lo
	v_cndmask_b32_e32 v8, v8, v33, vcc_lo
	v_cmp_lt_u32_e32 vcc_lo, 7, v10
	v_and_b32_e32 v10, 16, v30
	s_delay_alu instid0(VALU_DEP_3) | instskip(NEXT) | instid1(VALU_DEP_1)
	v_mov_b32_dpp v9, v8 row_shr:8 row_mask:0xf bank_mask:0xf
	v_mul_lo_u16 v9, v7, v9
	s_delay_alu instid0(VALU_DEP_1) | instskip(SKIP_1) | instid1(VALU_DEP_2)
	v_and_b32_e32 v33, 0xff, v9
	v_cndmask_b32_e32 v7, v7, v9, vcc_lo
	v_cndmask_b32_e32 v8, v8, v33, vcc_lo
	v_cmp_ne_u32_e32 vcc_lo, 0, v10
	ds_swizzle_b32 v8, v8 offset:swizzle(BROADCAST,32,15)
	s_waitcnt lgkmcnt(0)
	v_cndmask_b32_e32 v8, 1, v8, vcc_lo
	s_delay_alu instid0(VALU_DEP_1)
	v_mul_lo_u16 v7, v7, v8
	v_cmpx_eq_u32_e64 v32, v0
	s_cbranch_execz .LBB12_55
; %bb.54:
	ds_store_b8 v31, v7
.LBB12_55:
	s_or_b32 exec_lo, exec_lo, s2
	s_delay_alu instid0(SALU_CYCLE_1)
	s_mov_b32 s2, exec_lo
	s_waitcnt lgkmcnt(0)
	s_barrier
	buffer_gl0_inv
	v_cmpx_gt_u32_e32 8, v0
	s_cbranch_execz .LBB12_57
; %bb.56:
	ds_load_u8 v8, v0
	s_waitcnt lgkmcnt(0)
	v_and_b32_e32 v9, 0xff, v8
	s_delay_alu instid0(VALU_DEP_1) | instskip(NEXT) | instid1(VALU_DEP_1)
	v_mov_b32_dpp v10, v9 row_shr:1 row_mask:0xf bank_mask:0xf
	v_mul_lo_u16 v10, v8, v10
	v_and_b32_e32 v33, 7, v30
	s_delay_alu instid0(VALU_DEP_2) | instskip(NEXT) | instid1(VALU_DEP_2)
	v_and_b32_e32 v34, 0xff, v10
	v_cmp_eq_u32_e32 vcc_lo, 0, v33
	s_delay_alu instid0(VALU_DEP_2) | instskip(SKIP_2) | instid1(VALU_DEP_3)
	v_cndmask_b32_e32 v9, v34, v9, vcc_lo
	v_cndmask_b32_e32 v8, v10, v8, vcc_lo
	v_cmp_lt_u32_e32 vcc_lo, 1, v33
	v_mov_b32_dpp v10, v9 row_shr:2 row_mask:0xf bank_mask:0xf
	s_delay_alu instid0(VALU_DEP_1) | instskip(NEXT) | instid1(VALU_DEP_1)
	v_mul_lo_u16 v10, v8, v10
	v_and_b32_e32 v34, 0xff, v10
	v_cndmask_b32_e32 v8, v8, v10, vcc_lo
	s_delay_alu instid0(VALU_DEP_2) | instskip(SKIP_1) | instid1(VALU_DEP_2)
	v_cndmask_b32_e32 v9, v9, v34, vcc_lo
	v_cmp_lt_u32_e32 vcc_lo, 3, v33
	v_mov_b32_dpp v9, v9 row_shr:4 row_mask:0xf bank_mask:0xf
	s_delay_alu instid0(VALU_DEP_1) | instskip(NEXT) | instid1(VALU_DEP_1)
	v_cndmask_b32_e32 v9, 1, v9, vcc_lo
	v_mul_lo_u16 v8, v8, v9
	ds_store_b8 v0, v8
.LBB12_57:
	s_or_b32 exec_lo, exec_lo, s2
	v_cmp_gt_u32_e32 vcc_lo, 32, v0
	s_mov_b32 s3, exec_lo
	s_waitcnt lgkmcnt(0)
	s_barrier
	buffer_gl0_inv
                                        ; implicit-def: $vgpr33
	v_cmpx_lt_u32_e32 31, v0
	s_cbranch_execz .LBB12_59
; %bb.58:
	v_add_nc_u32_e32 v8, -1, v31
	ds_load_u8 v33, v8
	s_waitcnt lgkmcnt(0)
	v_mul_lo_u16 v7, v33, v7
.LBB12_59:
	s_or_b32 exec_lo, exec_lo, s3
	v_add_nc_u32_e32 v8, -1, v30
	s_delay_alu instid0(VALU_DEP_2) | instskip(NEXT) | instid1(VALU_DEP_2)
	v_and_b32_e32 v7, 0xff, v7
	v_cmp_gt_i32_e64 s2, 0, v8
	s_delay_alu instid0(VALU_DEP_1) | instskip(SKIP_1) | instid1(VALU_DEP_2)
	v_cndmask_b32_e64 v8, v8, v30, s2
	v_cmp_eq_u32_e64 s2, 0, v30
	v_lshlrev_b32_e32 v8, 2, v8
	ds_bpermute_b32 v34, v8, v7
	s_and_saveexec_b32 s7, vcc_lo
	s_cbranch_execz .LBB12_77
; %bb.60:
	v_mov_b32_e32 v9, 0
	ds_load_u8 v35, v9 offset:7
	s_and_saveexec_b32 s3, s2
	s_cbranch_execz .LBB12_62
; %bb.61:
	s_waitcnt lgkmcnt(0)
	v_and_b32_e32 v7, 0xff, v35
	s_add_i32 s4, s15, 32
	s_mov_b32 s5, 0
	s_delay_alu instid0(SALU_CYCLE_1) | instskip(NEXT) | instid1(VALU_DEP_1)
	s_lshl_b64 s[4:5], s[4:5], 1
	v_or_b32_e32 v7, 0x100, v7
	s_add_u32 s4, s8, s4
	s_addc_u32 s5, s9, s5
	global_store_b16 v9, v7, s[4:5]
.LBB12_62:
	s_or_b32 exec_lo, exec_lo, s3
	v_xad_u32 v7, v30, -1, s15
	s_mov_b32 s4, 0
	s_mov_b32 s3, exec_lo
	s_delay_alu instid0(VALU_DEP_1) | instskip(NEXT) | instid1(VALU_DEP_1)
	v_add_nc_u32_e32 v8, 32, v7
	v_lshlrev_b64 v[8:9], 1, v[8:9]
	s_delay_alu instid0(VALU_DEP_1) | instskip(NEXT) | instid1(VALU_DEP_2)
	v_add_co_u32 v8, vcc_lo, s8, v8
	v_add_co_ci_u32_e32 v9, vcc_lo, s9, v9, vcc_lo
	global_load_u16 v10, v[8:9], off glc
	s_waitcnt vmcnt(0)
	v_lshrrev_b16 v36, 8, v10
	s_delay_alu instid0(VALU_DEP_1)
	v_cmpx_eq_u16_e32 0, v36
	s_cbranch_execz .LBB12_65
.LBB12_63:                              ; =>This Inner Loop Header: Depth=1
	global_load_u16 v10, v[8:9], off glc
	s_waitcnt vmcnt(0)
	v_lshrrev_b16 v36, 8, v10
	s_delay_alu instid0(VALU_DEP_1) | instskip(SKIP_1) | instid1(SALU_CYCLE_1)
	v_cmp_ne_u16_e32 vcc_lo, 0, v36
	s_or_b32 s4, vcc_lo, s4
	s_and_not1_b32 exec_lo, exec_lo, s4
	s_cbranch_execnz .LBB12_63
; %bb.64:
	s_or_b32 exec_lo, exec_lo, s4
.LBB12_65:
	s_delay_alu instid0(SALU_CYCLE_1)
	s_or_b32 exec_lo, exec_lo, s3
	v_cmp_ne_u32_e32 vcc_lo, 31, v30
	v_lshlrev_b32_e64 v38, v30, -1
	v_add_nc_u32_e32 v39, 1, v30
	v_cmp_gt_u32_e64 s3, 30, v30
	v_cmp_gt_u32_e64 s4, 24, v30
	v_add_co_ci_u32_e32 v8, vcc_lo, 0, v30, vcc_lo
	v_cmp_eq_u16_e32 vcc_lo, 2, v36
	s_delay_alu instid0(VALU_DEP_4) | instskip(SKIP_1) | instid1(VALU_DEP_4)
	v_cndmask_b32_e64 v40, 0, 1, s3
	v_cmp_gt_u32_e64 s3, 28, v30
	v_lshlrev_b32_e32 v37, 2, v8
	v_cmp_gt_u32_e64 s5, 16, v30
	v_and_or_b32 v41, vcc_lo, v38, 0x80000000
	s_delay_alu instid0(VALU_DEP_4) | instskip(NEXT) | instid1(VALU_DEP_2)
	v_cndmask_b32_e64 v42, 0, 1, s3
	v_ctz_i32_b32_e32 v45, v41
	s_delay_alu instid0(VALU_DEP_2) | instskip(NEXT) | instid1(VALU_DEP_2)
	v_lshlrev_b32_e32 v42, 2, v42
	v_cmp_le_u32_e32 vcc_lo, v39, v45
	v_and_b32_e32 v9, 0xff, v10
	s_delay_alu instid0(VALU_DEP_3) | instskip(SKIP_3) | instid1(VALU_DEP_1)
	v_add_lshl_u32 v42, v42, v30, 2
	ds_bpermute_b32 v8, v37, v9
	s_waitcnt lgkmcnt(0)
	v_mul_lo_u16 v8, v10, v8
	v_and_b32_e32 v41, 0xff, v8
	v_cndmask_b32_e32 v8, v10, v8, vcc_lo
	s_delay_alu instid0(VALU_DEP_2) | instskip(NEXT) | instid1(VALU_DEP_1)
	v_dual_cndmask_b32 v9, v9, v41 :: v_dual_lshlrev_b32 v40, 1, v40
	v_add_lshl_u32 v40, v40, v30, 2
	ds_bpermute_b32 v41, v40, v9
	s_waitcnt lgkmcnt(0)
	v_mul_lo_u16 v43, v8, v41
	v_add_nc_u32_e32 v41, 2, v30
	s_delay_alu instid0(VALU_DEP_2) | instskip(NEXT) | instid1(VALU_DEP_2)
	v_and_b32_e32 v44, 0xff, v43
	v_cmp_le_u32_e64 s3, v41, v45
	s_delay_alu instid0(VALU_DEP_1)
	v_cndmask_b32_e64 v9, v9, v44, s3
	v_cndmask_b32_e64 v8, v8, v43, s3
	;; [unrolled: 1-line block ×3, first 2 shown]
	s_or_b32 s3, vcc_lo, s3
	ds_bpermute_b32 v44, v42, v9
	s_waitcnt lgkmcnt(0)
	v_mul_lo_u16 v46, v8, v44
	v_lshlrev_b32_e32 v44, 3, v43
	v_add_nc_u32_e32 v43, 4, v30
	s_delay_alu instid0(VALU_DEP_3) | instskip(NEXT) | instid1(VALU_DEP_3)
	v_and_b32_e32 v47, 0xff, v46
	v_add_lshl_u32 v44, v44, v30, 2
	s_delay_alu instid0(VALU_DEP_3) | instskip(NEXT) | instid1(VALU_DEP_1)
	v_cmp_le_u32_e64 s4, v43, v45
	v_cndmask_b32_e64 v9, v9, v47, s4
	v_cndmask_b32_e64 v8, v8, v46, s4
	;; [unrolled: 1-line block ×3, first 2 shown]
	s_or_b32 s3, s4, s3
	ds_bpermute_b32 v47, v44, v9
	s_waitcnt lgkmcnt(0)
	v_mul_lo_u16 v49, v8, v47
	v_lshlrev_b32_e32 v47, 4, v46
	v_add_nc_u32_e32 v46, 8, v30
	s_delay_alu instid0(VALU_DEP_3) | instskip(NEXT) | instid1(VALU_DEP_3)
	v_and_b32_e32 v48, 0xff, v49
	v_add_lshl_u32 v47, v47, v30, 2
	s_delay_alu instid0(VALU_DEP_3) | instskip(NEXT) | instid1(VALU_DEP_1)
	v_cmp_le_u32_e64 s5, v46, v45
	v_cndmask_b32_e64 v9, v9, v48, s5
	v_add_nc_u32_e32 v48, 16, v30
	v_cndmask_b32_e64 v8, v8, v49, s5
	s_or_b32 s3, s5, s3
	ds_bpermute_b32 v9, v47, v9
	v_cmp_le_u32_e64 s6, v48, v45
	s_delay_alu instid0(VALU_DEP_1) | instskip(SKIP_2) | instid1(VALU_DEP_1)
	s_or_b32 vcc_lo, s6, s3
	s_waitcnt lgkmcnt(0)
	v_cndmask_b32_e64 v9, 1, v9, s6
	v_mul_lo_u16 v8, v8, v9
	s_delay_alu instid0(VALU_DEP_1)
	v_dual_cndmask_b32 v9, v10, v8 :: v_dual_mov_b32 v8, 0
	s_branch .LBB12_67
.LBB12_66:                              ;   in Loop: Header=BB12_67 Depth=1
	s_or_b32 exec_lo, exec_lo, s3
	v_cmp_eq_u16_e32 vcc_lo, 2, v36
	v_subrev_nc_u32_e32 v7, 32, v7
	v_and_or_b32 v50, vcc_lo, v38, 0x80000000
	s_delay_alu instid0(VALU_DEP_1) | instskip(NEXT) | instid1(VALU_DEP_1)
	v_ctz_i32_b32_e32 v50, v50
	v_cmp_le_u32_e32 vcc_lo, v39, v50
	v_and_b32_e32 v9, 0xff, v49
	v_cmp_le_u32_e64 s3, v41, v50
	v_cmp_le_u32_e64 s4, v43, v50
	;; [unrolled: 1-line block ×4, first 2 shown]
	ds_bpermute_b32 v10, v37, v9
	s_waitcnt lgkmcnt(0)
	v_mul_lo_u16 v10, v49, v10
	s_delay_alu instid0(VALU_DEP_1) | instskip(SKIP_1) | instid1(VALU_DEP_2)
	v_and_b32_e32 v51, 0xff, v10
	v_cndmask_b32_e32 v10, v49, v10, vcc_lo
	v_cndmask_b32_e32 v9, v9, v51, vcc_lo
	ds_bpermute_b32 v51, v40, v9
	s_waitcnt lgkmcnt(0)
	v_mul_lo_u16 v51, v10, v51
	s_delay_alu instid0(VALU_DEP_1) | instskip(SKIP_1) | instid1(VALU_DEP_2)
	v_and_b32_e32 v52, 0xff, v51
	v_cndmask_b32_e64 v10, v10, v51, s3
	v_cndmask_b32_e64 v9, v9, v52, s3
	s_or_b32 s3, vcc_lo, s3
	s_delay_alu instid0(SALU_CYCLE_1) | instskip(SKIP_2) | instid1(SALU_CYCLE_1)
	s_or_b32 s3, s4, s3
	ds_bpermute_b32 v52, v42, v9
	s_or_b32 s3, s5, s3
	s_or_b32 vcc_lo, s6, s3
	s_waitcnt lgkmcnt(0)
	v_mul_lo_u16 v51, v10, v52
	s_delay_alu instid0(VALU_DEP_1) | instskip(SKIP_1) | instid1(VALU_DEP_2)
	v_and_b32_e32 v52, 0xff, v51
	v_cndmask_b32_e64 v10, v10, v51, s4
	v_cndmask_b32_e64 v9, v9, v52, s4
	ds_bpermute_b32 v52, v44, v9
	s_waitcnt lgkmcnt(0)
	v_mul_lo_u16 v51, v10, v52
	s_delay_alu instid0(VALU_DEP_1) | instskip(SKIP_1) | instid1(VALU_DEP_2)
	v_and_b32_e32 v52, 0xff, v51
	v_cndmask_b32_e64 v10, v10, v51, s5
	v_cndmask_b32_e64 v9, v9, v52, s5
	ds_bpermute_b32 v9, v47, v9
	s_waitcnt lgkmcnt(0)
	v_cndmask_b32_e64 v9, 1, v9, s6
	s_delay_alu instid0(VALU_DEP_1) | instskip(NEXT) | instid1(VALU_DEP_1)
	v_mul_lo_u16 v9, v10, v9
	v_cndmask_b32_e32 v9, v49, v9, vcc_lo
	s_delay_alu instid0(VALU_DEP_1)
	v_mul_lo_u16 v9, v9, v45
.LBB12_67:                              ; =>This Loop Header: Depth=1
                                        ;     Child Loop BB12_70 Depth 2
	s_delay_alu instid0(VALU_DEP_1) | instskip(NEXT) | instid1(VALU_DEP_1)
	v_dual_mov_b32 v45, v9 :: v_dual_and_b32 v10, 0xff, v36
	v_cmp_ne_u16_e32 vcc_lo, 2, v10
	v_cndmask_b32_e64 v10, 0, 1, vcc_lo
	;;#ASMSTART
	;;#ASMEND
	s_delay_alu instid0(VALU_DEP_1)
	v_cmp_ne_u32_e32 vcc_lo, 0, v10
	s_cmp_lg_u32 vcc_lo, exec_lo
	s_cbranch_scc1 .LBB12_72
; %bb.68:                               ;   in Loop: Header=BB12_67 Depth=1
	v_lshlrev_b64 v[9:10], 1, v[7:8]
	s_mov_b32 s3, exec_lo
	s_delay_alu instid0(VALU_DEP_1) | instskip(NEXT) | instid1(VALU_DEP_2)
	v_add_co_u32 v9, vcc_lo, s8, v9
	v_add_co_ci_u32_e32 v10, vcc_lo, s9, v10, vcc_lo
	global_load_u16 v49, v[9:10], off glc
	s_waitcnt vmcnt(0)
	v_lshrrev_b16 v36, 8, v49
	s_delay_alu instid0(VALU_DEP_1)
	v_cmpx_eq_u16_e32 0, v36
	s_cbranch_execz .LBB12_66
; %bb.69:                               ;   in Loop: Header=BB12_67 Depth=1
	s_mov_b32 s4, 0
.LBB12_70:                              ;   Parent Loop BB12_67 Depth=1
                                        ; =>  This Inner Loop Header: Depth=2
	global_load_u16 v49, v[9:10], off glc
	s_waitcnt vmcnt(0)
	v_lshrrev_b16 v36, 8, v49
	s_delay_alu instid0(VALU_DEP_1) | instskip(SKIP_1) | instid1(SALU_CYCLE_1)
	v_cmp_ne_u16_e32 vcc_lo, 0, v36
	s_or_b32 s4, vcc_lo, s4
	s_and_not1_b32 exec_lo, exec_lo, s4
	s_cbranch_execnz .LBB12_70
; %bb.71:                               ;   in Loop: Header=BB12_67 Depth=1
	s_or_b32 exec_lo, exec_lo, s4
	s_branch .LBB12_66
.LBB12_72:                              ;   in Loop: Header=BB12_67 Depth=1
                                        ; implicit-def: $vgpr9
                                        ; implicit-def: $vgpr36
	s_cbranch_execz .LBB12_67
; %bb.73:
	s_and_saveexec_b32 s3, s2
	s_cbranch_execz .LBB12_75
; %bb.74:
	v_mul_lo_u16 v7, v45, v35
	s_add_i32 s4, s15, 32
	s_mov_b32 s5, 0
	v_mov_b32_e32 v8, 0
	s_lshl_b64 s[4:5], s[4:5], 1
	v_and_b32_e32 v7, 0xff, v7
	s_add_u32 s4, s8, s4
	s_addc_u32 s5, s9, s5
	s_delay_alu instid0(VALU_DEP_1)
	v_or_b32_e32 v7, 0x200, v7
	global_store_b16 v8, v7, s[4:5]
.LBB12_75:
	s_or_b32 exec_lo, exec_lo, s3
	v_cmp_eq_u32_e32 vcc_lo, 0, v0
	s_and_b32 exec_lo, exec_lo, vcc_lo
	s_cbranch_execz .LBB12_77
; %bb.76:
	v_mov_b32_e32 v7, 0
	ds_store_b8 v7, v45 offset:7
.LBB12_77:
	s_or_b32 exec_lo, exec_lo, s7
	s_waitcnt lgkmcnt(0)
	v_cndmask_b32_e64 v8, v34, v33, s2
	v_cmp_ne_u32_e32 vcc_lo, 0, v0
	v_mov_b32_e32 v7, 0
	s_waitcnt_vscnt null, 0x0
	s_barrier
	buffer_gl0_inv
	v_cndmask_b32_e32 v8, 1, v8, vcc_lo
	ds_load_u8 v7, v7 offset:7
	v_mul_lo_u16 v8, v8, v1
	s_waitcnt lgkmcnt(0)
	s_delay_alu instid0(VALU_DEP_1)
	v_mul_lo_u16 v7, v8, v7
	s_load_b128 s[4:7], s[0:1], 0x30
	s_branch .LBB12_90
.LBB12_78:
                                        ; implicit-def: $vgpr7
	s_load_b128 s[4:7], s[0:1], 0x30
	s_cbranch_execz .LBB12_90
; %bb.79:
	s_load_b32 s2, s[0:1], 0x40
	v_cmp_eq_u32_e32 vcc_lo, 0, v0
	s_waitcnt lgkmcnt(0)
	s_bitcmp1_b32 s2, 0
	s_cselect_b32 s2, -1, 0
	s_delay_alu instid0(SALU_CYCLE_1) | instskip(NEXT) | instid1(SALU_CYCLE_1)
	s_and_b32 s3, vcc_lo, s2
	s_and_saveexec_b32 s2, s3
	s_cbranch_execz .LBB12_81
; %bb.80:
	v_mov_b32_e32 v7, 0
	global_load_u8 v7, v7, s[4:5]
	s_waitcnt vmcnt(0)
	v_mul_lo_u16 v1, v7, v1
.LBB12_81:
	s_or_b32 exec_lo, exec_lo, s2
	v_mul_lo_u16 v7, v28, v27
	v_and_b32_e32 v10, 15, v30
	s_mov_b32 s3, exec_lo
	s_delay_alu instid0(VALU_DEP_2) | instskip(NEXT) | instid1(VALU_DEP_2)
	v_mul_lo_u16 v7, v7, v29
	v_cmp_eq_u32_e64 s2, 0, v10
	s_delay_alu instid0(VALU_DEP_2) | instskip(NEXT) | instid1(VALU_DEP_1)
	v_mul_lo_u16 v7, v7, v2
	v_mul_lo_u16 v7, v7, v24
	s_delay_alu instid0(VALU_DEP_1) | instskip(NEXT) | instid1(VALU_DEP_1)
	v_mul_lo_u16 v7, v7, v25
	v_mul_lo_u16 v7, v7, v26
	s_delay_alu instid0(VALU_DEP_1) | instskip(NEXT) | instid1(VALU_DEP_1)
	;; [unrolled: 3-line block ×10, first 2 shown]
	v_mul_lo_u16 v7, v7, v1
	v_and_b32_e32 v8, 0xff, v7
	s_delay_alu instid0(VALU_DEP_1) | instskip(NEXT) | instid1(VALU_DEP_1)
	v_mov_b32_dpp v9, v8 row_shr:1 row_mask:0xf bank_mask:0xf
	v_mul_lo_u16 v9, v7, v9
	s_delay_alu instid0(VALU_DEP_1) | instskip(SKIP_1) | instid1(VALU_DEP_2)
	v_and_b32_e32 v33, 0xff, v9
	v_cndmask_b32_e64 v7, v9, v7, s2
	v_cndmask_b32_e64 v8, v33, v8, s2
	v_cmp_lt_u32_e64 s2, 1, v10
	s_delay_alu instid0(VALU_DEP_2) | instskip(NEXT) | instid1(VALU_DEP_1)
	v_mov_b32_dpp v9, v8 row_shr:2 row_mask:0xf bank_mask:0xf
	v_mul_lo_u16 v9, v7, v9
	s_delay_alu instid0(VALU_DEP_1) | instskip(NEXT) | instid1(VALU_DEP_4)
	v_and_b32_e32 v33, 0xff, v9
	v_cndmask_b32_e64 v7, v7, v9, s2
	s_delay_alu instid0(VALU_DEP_2) | instskip(SKIP_1) | instid1(VALU_DEP_2)
	v_cndmask_b32_e64 v8, v8, v33, s2
	v_cmp_lt_u32_e64 s2, 3, v10
	v_mov_b32_dpp v9, v8 row_shr:4 row_mask:0xf bank_mask:0xf
	s_delay_alu instid0(VALU_DEP_1) | instskip(NEXT) | instid1(VALU_DEP_1)
	v_mul_lo_u16 v9, v7, v9
	v_and_b32_e32 v33, 0xff, v9
	s_delay_alu instid0(VALU_DEP_4) | instskip(NEXT) | instid1(VALU_DEP_2)
	v_cndmask_b32_e64 v7, v7, v9, s2
	v_cndmask_b32_e64 v8, v8, v33, s2
	v_cmp_lt_u32_e64 s2, 7, v10
	v_and_b32_e32 v10, 16, v30
	s_delay_alu instid0(VALU_DEP_3) | instskip(NEXT) | instid1(VALU_DEP_1)
	v_mov_b32_dpp v9, v8 row_shr:8 row_mask:0xf bank_mask:0xf
	v_mul_lo_u16 v9, v7, v9
	s_delay_alu instid0(VALU_DEP_1) | instskip(SKIP_1) | instid1(VALU_DEP_2)
	v_and_b32_e32 v33, 0xff, v9
	v_cndmask_b32_e64 v7, v7, v9, s2
	v_cndmask_b32_e64 v8, v8, v33, s2
	v_cmp_ne_u32_e64 s2, 0, v10
	ds_swizzle_b32 v8, v8 offset:swizzle(BROADCAST,32,15)
	s_waitcnt lgkmcnt(0)
	v_cndmask_b32_e64 v8, 1, v8, s2
	s_delay_alu instid0(VALU_DEP_1)
	v_mul_lo_u16 v7, v7, v8
	v_cmpx_eq_u32_e64 v32, v0
	s_cbranch_execz .LBB12_83
; %bb.82:
	ds_store_b8 v31, v7
.LBB12_83:
	s_or_b32 exec_lo, exec_lo, s3
	s_delay_alu instid0(SALU_CYCLE_1)
	s_mov_b32 s3, exec_lo
	s_waitcnt lgkmcnt(0)
	s_barrier
	buffer_gl0_inv
	v_cmpx_gt_u32_e32 8, v0
	s_cbranch_execz .LBB12_85
; %bb.84:
	ds_load_u8 v8, v0
	v_and_b32_e32 v32, 7, v30
	s_delay_alu instid0(VALU_DEP_1) | instskip(SKIP_2) | instid1(VALU_DEP_1)
	v_cmp_eq_u32_e64 s2, 0, v32
	s_waitcnt lgkmcnt(0)
	v_and_b32_e32 v9, 0xff, v8
	v_mov_b32_dpp v10, v9 row_shr:1 row_mask:0xf bank_mask:0xf
	s_delay_alu instid0(VALU_DEP_1) | instskip(NEXT) | instid1(VALU_DEP_1)
	v_mul_lo_u16 v10, v8, v10
	v_and_b32_e32 v33, 0xff, v10
	v_cndmask_b32_e64 v8, v10, v8, s2
	s_delay_alu instid0(VALU_DEP_2) | instskip(SKIP_1) | instid1(VALU_DEP_2)
	v_cndmask_b32_e64 v9, v33, v9, s2
	v_cmp_lt_u32_e64 s2, 1, v32
	v_mov_b32_dpp v10, v9 row_shr:2 row_mask:0xf bank_mask:0xf
	s_delay_alu instid0(VALU_DEP_1) | instskip(NEXT) | instid1(VALU_DEP_1)
	v_mul_lo_u16 v10, v8, v10
	v_and_b32_e32 v33, 0xff, v10
	s_delay_alu instid0(VALU_DEP_4) | instskip(NEXT) | instid1(VALU_DEP_2)
	v_cndmask_b32_e64 v8, v8, v10, s2
	v_cndmask_b32_e64 v9, v9, v33, s2
	v_cmp_lt_u32_e64 s2, 3, v32
	s_delay_alu instid0(VALU_DEP_2) | instskip(NEXT) | instid1(VALU_DEP_1)
	v_mov_b32_dpp v9, v9 row_shr:4 row_mask:0xf bank_mask:0xf
	v_cndmask_b32_e64 v9, 1, v9, s2
	s_delay_alu instid0(VALU_DEP_1)
	v_mul_lo_u16 v8, v8, v9
	ds_store_b8 v0, v8
.LBB12_85:
	s_or_b32 exec_lo, exec_lo, s3
	s_delay_alu instid0(SALU_CYCLE_1)
	s_mov_b32 s3, exec_lo
	s_waitcnt lgkmcnt(0)
	s_barrier
	buffer_gl0_inv
                                        ; implicit-def: $vgpr8
	v_cmpx_lt_u32_e32 31, v0
	s_cbranch_execz .LBB12_87
; %bb.86:
	v_add_nc_u32_e32 v8, -1, v31
	ds_load_u8 v8, v8
	s_waitcnt lgkmcnt(0)
	v_mul_lo_u16 v7, v8, v7
.LBB12_87:
	s_or_b32 exec_lo, exec_lo, s3
	v_add_nc_u32_e32 v9, -1, v30
	s_delay_alu instid0(VALU_DEP_2) | instskip(NEXT) | instid1(VALU_DEP_2)
	v_and_b32_e32 v7, 0xff, v7
	v_cmp_gt_i32_e64 s2, 0, v9
	s_delay_alu instid0(VALU_DEP_1) | instskip(SKIP_1) | instid1(VALU_DEP_2)
	v_cndmask_b32_e64 v9, v9, v30, s2
	v_cmp_eq_u32_e64 s2, 0, v30
	v_lshlrev_b32_e32 v9, 2, v9
	ds_bpermute_b32 v7, v9, v7
	s_waitcnt lgkmcnt(0)
	v_cndmask_b32_e64 v7, v7, v8, s2
	s_delay_alu instid0(VALU_DEP_1)
	v_cndmask_b32_e64 v7, v7, 1, vcc_lo
	s_and_saveexec_b32 s2, vcc_lo
	s_cbranch_execz .LBB12_89
; %bb.88:
	v_mov_b32_e32 v8, 0
	ds_load_u8 v9, v8 offset:7
	s_waitcnt lgkmcnt(0)
	v_or_b32_e32 v9, 0x200, v9
	global_store_b16 v8, v9, s[8:9] offset:64
.LBB12_89:
	s_or_b32 exec_lo, exec_lo, s2
	s_delay_alu instid0(VALU_DEP_1)
	v_mul_lo_u16 v7, v7, v1
.LBB12_90:
	s_delay_alu instid0(VALU_DEP_1)
	v_mul_lo_u16 v1, v7, v27
	s_add_u32 s2, s10, s16
	s_addc_u32 s3, s11, 0
	s_and_b32 vcc_lo, exec_lo, s14
	s_waitcnt lgkmcnt(0)
	s_mov_b32 s4, -1
	v_mul_lo_u16 v8, v1, v28
	s_waitcnt_vscnt null, 0x0
	s_barrier
	buffer_gl0_inv
	v_mul_lo_u16 v9, v8, v29
	s_delay_alu instid0(VALU_DEP_1) | instskip(SKIP_1) | instid1(VALU_DEP_2)
	v_mul_lo_u16 v10, v9, v2
	v_and_b32_e32 v2, 0xff, v7
	v_mul_lo_u16 v24, v10, v24
	s_delay_alu instid0(VALU_DEP_1) | instskip(NEXT) | instid1(VALU_DEP_1)
	v_mul_lo_u16 v25, v24, v25
	v_mul_lo_u16 v26, v25, v26
	s_delay_alu instid0(VALU_DEP_1) | instskip(SKIP_2) | instid1(VALU_DEP_3)
	v_mul_lo_u16 v27, v26, v3
	v_lshlrev_b16 v3, 8, v9
	v_lshlrev_b16 v9, 8, v24
	v_mul_lo_u16 v21, v27, v21
	s_delay_alu instid0(VALU_DEP_1) | instskip(NEXT) | instid1(VALU_DEP_1)
	v_mul_lo_u16 v22, v21, v22
	v_mul_lo_u16 v23, v22, v23
	s_delay_alu instid0(VALU_DEP_1)
	v_mul_lo_u16 v28, v23, v4
	v_lshlrev_b16 v4, 8, v1
	v_and_b32_e32 v1, 0xff, v8
	v_and_b32_e32 v8, 0xff, v10
	;; [unrolled: 1-line block ×3, first 2 shown]
	v_mul_lo_u16 v29, v28, v18
	v_and_b32_e32 v18, 0xff, v27
	s_delay_alu instid0(VALU_DEP_2) | instskip(SKIP_3) | instid1(VALU_DEP_4)
	v_mul_lo_u16 v30, v29, v19
	v_lshlrev_b16 v19, 8, v21
	v_lshlrev_b16 v21, 8, v23
	v_lshlrev_b16 v23, 8, v29
	v_mul_lo_u16 v31, v30, v20
	v_and_b32_e32 v20, 0xff, v22
	v_and_b32_e32 v22, 0xff, v28
	;; [unrolled: 1-line block ×3, first 2 shown]
	s_delay_alu instid0(VALU_DEP_4) | instskip(SKIP_1) | instid1(VALU_DEP_2)
	v_mul_lo_u16 v5, v31, v5
	v_lshlrev_b16 v25, 8, v31
	v_mul_lo_u16 v17, v5, v17
	v_and_b32_e32 v5, 0xff, v5
	s_delay_alu instid0(VALU_DEP_2) | instskip(NEXT) | instid1(VALU_DEP_1)
	v_mul_lo_u16 v32, v17, v16
	v_mul_lo_u16 v7, v32, v15
	v_lshlrev_b16 v15, 8, v26
	s_delay_alu instid0(VALU_DEP_2) | instskip(SKIP_2) | instid1(VALU_DEP_3)
	v_mul_lo_u16 v16, v7, v6
	v_lshlrev_b16 v6, 8, v17
	v_lshlrev_b16 v7, 8, v7
	v_mul_lo_u16 v14, v16, v14
	s_delay_alu instid0(VALU_DEP_1) | instskip(SKIP_2) | instid1(VALU_DEP_3)
	v_mul_lo_u16 v26, v14, v13
	v_and_b32_e32 v13, 0xff, v16
	v_lshlrev_b16 v16, 8, v14
	v_mul_lo_u16 v12, v26, v12
	v_and_b32_e32 v14, 0xff, v26
	s_delay_alu instid0(VALU_DEP_2)
	v_lshlrev_b16 v17, 8, v12
	v_and_b32_e32 v12, 0xff, v32
	s_cbranch_vccz .LBB12_92
; %bb.91:
	v_or_b32_e32 v26, v22, v23
	v_or_b32_e32 v27, v24, v25
	;; [unrolled: 1-line block ×5, first 2 shown]
	v_and_b32_e32 v26, 0xffff, v26
	v_lshlrev_b32_e32 v27, 16, v27
	v_or_b32_e32 v32, v2, v4
	v_or_b32_e32 v28, v18, v19
	;; [unrolled: 1-line block ×5, first 2 shown]
	v_lshlrev_b32_e32 v26, 16, v29
	v_and_b32_e32 v29, 0xffff, v30
	v_lshlrev_b32_e32 v30, 16, v31
	v_and_b32_e32 v31, 0xffff, v32
	v_or_b32_e32 v32, v1, v3
	v_or_b32_e32 v35, v5, v6
	;; [unrolled: 1-line block ×3, first 2 shown]
	v_and_b32_e32 v28, 0xffff, v28
	v_and_b32_e32 v33, 0xffff, v33
	v_lshlrev_b32_e32 v32, 16, v32
	v_lshlrev_b32_e32 v34, 16, v34
	v_and_b32_e32 v35, 0xffff, v35
	v_lshlrev_b32_e32 v36, 16, v36
	v_or_b32_e32 v26, v28, v26
	v_or_b32_e32 v29, v29, v30
	;; [unrolled: 1-line block ×5, first 2 shown]
	ds_store_2addr_b64 v11, v[28:29], v[26:27] offset1:1
	ds_store_b64 v11, v[30:31] offset:16
	s_waitcnt lgkmcnt(0)
	s_barrier
	buffer_gl0_inv
	ds_load_u8 v26, v0
	ds_load_u8 v27, v0 offset:256
	ds_load_u8 v28, v0 offset:512
	ds_load_u8 v29, v0 offset:768
	ds_load_u8 v30, v0 offset:1024
	ds_load_u8 v31, v0 offset:1280
	ds_load_u8 v32, v0 offset:1536
	ds_load_u8 v33, v0 offset:1792
	ds_load_u8 v34, v0 offset:2048
	ds_load_u8 v35, v0 offset:2304
	ds_load_u8 v36, v0 offset:2560
	ds_load_u8 v37, v0 offset:2816
	ds_load_u8 v38, v0 offset:3072
	ds_load_u8 v39, v0 offset:3328
	ds_load_u8 v40, v0 offset:3584
	ds_load_u8 v41, v0 offset:3840
	ds_load_u8 v42, v0 offset:4096
	ds_load_u8 v43, v0 offset:4352
	ds_load_u8 v44, v0 offset:4608
	ds_load_u8 v45, v0 offset:4864
	ds_load_u8 v46, v0 offset:5120
	ds_load_u8 v47, v0 offset:5376
	ds_load_u8 v48, v0 offset:5632
	ds_load_u8 v49, v0 offset:5888
	v_add_co_u32 v50, s5, s2, v0
	s_delay_alu instid0(VALU_DEP_1)
	v_add_co_ci_u32_e64 v51, null, s3, 0, s5
	s_waitcnt lgkmcnt(23)
	global_store_b8 v0, v26, s[2:3]
	s_waitcnt lgkmcnt(22)
	global_store_b8 v0, v27, s[2:3] offset:256
	s_waitcnt lgkmcnt(21)
	global_store_b8 v0, v28, s[2:3] offset:512
	;; [unrolled: 2-line block ×7, first 2 shown]
	v_add_co_u32 v26, vcc_lo, 0x1000, v50
	s_mov_b32 s4, 0
	v_add_co_ci_u32_e32 v27, vcc_lo, 0, v51, vcc_lo
	s_waitcnt lgkmcnt(15)
	global_store_b8 v0, v34, s[2:3] offset:2048
	s_waitcnt lgkmcnt(14)
	global_store_b8 v0, v35, s[2:3] offset:2304
	;; [unrolled: 2-line block ×8, first 2 shown]
	s_waitcnt lgkmcnt(7)
	global_store_b8 v[26:27], v42, off
	s_waitcnt lgkmcnt(6)
	global_store_b8 v[26:27], v43, off offset:256
	s_waitcnt lgkmcnt(5)
	global_store_b8 v[26:27], v44, off offset:512
	;; [unrolled: 2-line block ×7, first 2 shown]
.LBB12_92:
	s_and_not1_b32 vcc_lo, exec_lo, s4
	s_cbranch_vccnz .LBB12_149
; %bb.93:
	v_or_b32_e32 v18, v18, v19
	v_or_b32_e32 v4, v2, v4
	;; [unrolled: 1-line block ×8, first 2 shown]
	v_and_b32_e32 v10, 0xffff, v18
	v_and_b32_e32 v18, 0xffff, v4
	v_or_b32_e32 v3, v13, v16
	v_or_b32_e32 v4, v14, v17
	;; [unrolled: 1-line block ×4, first 2 shown]
	v_and_b32_e32 v20, 0xffff, v22
	v_lshlrev_b32_e32 v21, 16, v23
	v_lshlrev_b32_e32 v15, 16, v19
	v_and_b32_e32 v8, 0xffff, v8
	v_lshlrev_b32_e32 v9, 16, v9
	v_lshlrev_b32_e32 v7, 16, v1
	v_and_b32_e32 v12, 0xffff, v3
	v_lshlrev_b32_e32 v13, 16, v4
	v_and_b32_e32 v5, 0xffff, v5
	v_lshlrev_b32_e32 v14, 16, v6
	v_or_b32_e32 v2, v20, v21
	v_or_b32_e32 v1, v10, v15
	;; [unrolled: 1-line block ×6, first 2 shown]
	ds_store_2addr_b64 v11, v[3:4], v[1:2] offset1:1
	ds_store_b64 v11, v[5:6] offset:16
	v_mov_b32_e32 v1, 0
	s_waitcnt lgkmcnt(0)
	s_waitcnt_vscnt null, 0x0
	s_barrier
	buffer_gl0_inv
	ds_load_u8 v5, v0
	ds_load_u8 v4, v0 offset:256
	ds_load_u8 v7, v0 offset:512
	;; [unrolled: 1-line block ×23, first 2 shown]
	v_add_co_u32 v2, s2, s2, v0
	s_delay_alu instid0(VALU_DEP_1)
	v_add_co_ci_u32_e64 v3, null, s3, 0, s2
	s_mov_b32 s2, exec_lo
	v_cmpx_gt_u32_e64 s12, v0
	s_cbranch_execz .LBB12_95
; %bb.94:
	s_waitcnt lgkmcnt(23)
	global_store_b8 v[2:3], v5, off
.LBB12_95:
	s_or_b32 exec_lo, exec_lo, s2
	v_or_b32_e32 v29, 0x100, v0
	s_mov_b32 s2, exec_lo
	s_delay_alu instid0(VALU_DEP_1)
	v_cmpx_gt_u32_e64 s12, v29
	s_cbranch_execz .LBB12_97
; %bb.96:
	s_waitcnt lgkmcnt(22)
	global_store_b8 v[2:3], v4, off offset:256
.LBB12_97:
	s_or_b32 exec_lo, exec_lo, s2
	v_or_b32_e32 v29, 0x200, v0
	s_mov_b32 s2, exec_lo
	s_delay_alu instid0(VALU_DEP_1)
	v_cmpx_gt_u32_e64 s12, v29
	s_cbranch_execz .LBB12_99
; %bb.98:
	s_waitcnt lgkmcnt(21)
	global_store_b8 v[2:3], v7, off offset:512
.LBB12_99:
	;; [unrolled: 10-line block ×15, first 2 shown]
	s_or_b32 exec_lo, exec_lo, s2
	v_or_b32_e32 v29, 0x1000, v0
	s_mov_b32 s2, exec_lo
	s_delay_alu instid0(VALU_DEP_1)
	v_cmpx_gt_u32_e64 s12, v29
	s_cbranch_execz .LBB12_127
; %bb.126:
	v_add_co_u32 v29, vcc_lo, 0x1000, v2
	v_add_co_ci_u32_e32 v30, vcc_lo, 0, v3, vcc_lo
	s_waitcnt lgkmcnt(7)
	global_store_b8 v[29:30], v23, off
.LBB12_127:
	s_or_b32 exec_lo, exec_lo, s2
	v_or_b32_e32 v29, 0x1100, v0
	s_mov_b32 s2, exec_lo
	s_delay_alu instid0(VALU_DEP_1)
	v_cmpx_gt_u32_e64 s12, v29
	s_cbranch_execz .LBB12_129
; %bb.128:
	v_add_co_u32 v29, vcc_lo, 0x1000, v2
	v_add_co_ci_u32_e32 v30, vcc_lo, 0, v3, vcc_lo
	s_waitcnt lgkmcnt(6)
	global_store_b8 v[29:30], v26, off offset:256
.LBB12_129:
	s_or_b32 exec_lo, exec_lo, s2
	v_or_b32_e32 v29, 0x1200, v0
	s_mov_b32 s2, exec_lo
	s_delay_alu instid0(VALU_DEP_1)
	v_cmpx_gt_u32_e64 s12, v29
	s_cbranch_execz .LBB12_131
; %bb.130:
	v_add_co_u32 v29, vcc_lo, 0x1000, v2
	v_add_co_ci_u32_e32 v30, vcc_lo, 0, v3, vcc_lo
	s_waitcnt lgkmcnt(5)
	global_store_b8 v[29:30], v25, off offset:512
.LBB12_131:
	;; [unrolled: 12-line block ×7, first 2 shown]
	s_or_b32 exec_lo, exec_lo, s2
	s_load_b32 s0, s[0:1], 0x40
	s_waitcnt lgkmcnt(0)
	s_bfe_u32 s0, s0, 0x10008
	s_delay_alu instid0(SALU_CYCLE_1)
	s_cmp_eq_u32 s0, 0
	s_cbranch_scc1 .LBB12_149
; %bb.142:
	s_add_u32 s0, s12, -1
	s_addc_u32 s1, s13, -1
	s_add_u32 s2, 0, 0xaaaa0000
	s_addc_u32 s3, 0, 42
	s_mul_hi_u32 s5, s2, 0xffffffe8
	s_add_i32 s3, s3, 0xaaaaa80
	s_sub_i32 s5, s5, s2
	s_mul_i32 s8, s3, 0xffffffe8
	s_mul_i32 s4, s2, 0xffffffe8
	s_add_i32 s5, s5, s8
	s_mul_hi_u32 s9, s3, s4
	s_mul_i32 s8, s3, s4
	s_mul_i32 s10, s2, s5
	s_mul_hi_u32 s4, s2, s4
	s_mul_hi_u32 s11, s2, s5
	s_add_u32 s4, s4, s10
	s_addc_u32 s10, 0, s11
	s_mul_hi_u32 s11, s3, s5
	s_add_u32 s4, s4, s8
	s_addc_u32 s4, s10, s9
	s_mul_i32 s5, s3, s5
	s_addc_u32 s8, s11, 0
	s_add_u32 s4, s4, s5
	s_delay_alu instid0(SALU_CYCLE_1) | instskip(SKIP_2) | instid1(VALU_DEP_1)
	v_add_co_u32 v2, s2, s2, s4
	s_addc_u32 s4, 0, s8
	s_cmp_lg_u32 s2, 0
	v_readfirstlane_b32 s2, v2
	s_addc_u32 s3, s3, s4
	s_delay_alu instid0(SALU_CYCLE_1) | instskip(SKIP_1) | instid1(VALU_DEP_1)
	s_mul_i32 s4, s0, s3
	s_mul_hi_u32 s8, s0, s3
	s_mul_hi_u32 s5, s0, s2
	s_mul_i32 s9, s1, s2
	s_add_u32 s4, s5, s4
	s_addc_u32 s5, 0, s8
	s_mul_hi_u32 s2, s1, s2
	s_mul_hi_u32 s8, s1, s3
	s_add_u32 s4, s4, s9
	s_addc_u32 s2, s5, s2
	s_mul_i32 s3, s1, s3
	s_addc_u32 s4, s8, 0
	s_add_u32 s2, s2, s3
	s_addc_u32 s3, 0, s4
	s_mul_i32 s5, s2, 24
	s_add_u32 s4, s2, 1
	v_sub_co_u32 v2, s5, s0, s5
	s_addc_u32 s8, s3, 0
	s_mul_i32 s10, s3, 24
	s_mul_hi_u32 s12, s2, 24
	s_delay_alu instid0(VALU_DEP_1)
	v_sub_co_u32 v3, s11, v2, 24
	s_add_u32 s9, s2, 2
	s_addc_u32 s13, s3, 0
	s_add_i32 s12, s12, s10
	s_cmp_lg_u32 s5, 0
	v_readfirstlane_b32 s5, v3
	s_subb_u32 s10, s1, s12
	s_cmp_lg_u32 s11, 0
	s_subb_u32 s11, s10, 0
	s_delay_alu instid0(VALU_DEP_1) | instskip(SKIP_4) | instid1(SALU_CYCLE_1)
	s_cmp_gt_u32 s5, 23
	s_cselect_b32 s5, -1, 0
	s_cmp_eq_u32 s11, 0
	v_readfirstlane_b32 s11, v2
	s_cselect_b32 s5, s5, -1
	s_cmp_lg_u32 s5, 0
	s_cselect_b32 s4, s9, s4
	s_cselect_b32 s5, s13, s8
	s_cmp_gt_u32 s11, 23
	s_cselect_b32 s8, -1, 0
	s_cmp_eq_u32 s10, 0
	s_cselect_b32 s8, s8, -1
	s_delay_alu instid0(SALU_CYCLE_1) | instskip(SKIP_2) | instid1(SALU_CYCLE_1)
	s_cmp_lg_u32 s8, 0
	s_cselect_b32 s3, s5, s3
	s_cselect_b32 s2, s4, s2
	v_cmp_eq_u64_e32 vcc_lo, s[2:3], v[0:1]
	s_and_saveexec_b32 s2, vcc_lo
	s_cbranch_execz .LBB12_149
; %bb.143:
	v_mul_hi_u32_u24_e32 v1, 24, v0
	v_sub_co_u32 v0, vcc_lo, s0, v11
	s_mov_b32 s0, 0
	s_mov_b32 s4, 0
	s_delay_alu instid0(VALU_DEP_2) | instskip(SKIP_3) | instid1(VALU_DEP_1)
	v_sub_co_ci_u32_e32 v1, vcc_lo, s1, v1, vcc_lo
	s_mov_b32 s3, 0
	s_mov_b32 s2, 0
	s_mov_b32 s1, exec_lo
	v_cmpx_lt_i64_e32 11, v[0:1]
	s_xor_b32 s1, exec_lo, s1
	s_cbranch_execnz .LBB12_150
; %bb.144:
	s_and_not1_saveexec_b32 s1, s1
	s_cbranch_execnz .LBB12_195
.LBB12_145:
	s_or_b32 exec_lo, exec_lo, s1
	s_and_saveexec_b32 s1, s4
	s_cbranch_execnz .LBB12_212
.LBB12_146:
	s_or_b32 exec_lo, exec_lo, s1
	s_and_saveexec_b32 s1, s3
	s_cbranch_execnz .LBB12_213
.LBB12_147:
	s_or_b32 exec_lo, exec_lo, s1
	s_and_saveexec_b32 s1, s2
	s_delay_alu instid0(SALU_CYCLE_1)
	s_xor_b32 s1, exec_lo, s1
	s_cbranch_execnz .LBB12_214
.LBB12_148:
	s_or_b32 exec_lo, exec_lo, s1
	s_delay_alu instid0(SALU_CYCLE_1)
	s_and_b32 exec_lo, exec_lo, s0
	s_cbranch_execnz .LBB12_215
.LBB12_149:
	s_nop 0
	s_sendmsg sendmsg(MSG_DEALLOC_VGPRS)
	s_endpgm
.LBB12_150:
	s_mov_b32 s5, exec_lo
	v_cmpx_lt_i64_e32 17, v[0:1]
	s_xor_b32 s5, exec_lo, s5
	s_cbranch_execz .LBB12_172
; %bb.151:
	s_mov_b32 s8, exec_lo
                                        ; implicit-def: $vgpr10
	v_cmpx_lt_i64_e32 20, v[0:1]
	s_xor_b32 s8, exec_lo, s8
	s_cbranch_execz .LBB12_161
; %bb.152:
	s_mov_b32 s9, 0
	s_mov_b32 s2, exec_lo
                                        ; implicit-def: $vgpr10
	v_cmpx_lt_i64_e32 21, v[0:1]
	s_xor_b32 s2, exec_lo, s2
	s_cbranch_execz .LBB12_158
; %bb.153:
	s_mov_b32 s9, exec_lo
	v_cmpx_lt_i64_e32 22, v[0:1]
	s_xor_b32 s9, exec_lo, s9
	s_cbranch_execz .LBB12_155
; %bb.154:
	v_mov_b32_e32 v2, 0
                                        ; implicit-def: $vgpr27
	global_store_b8 v2, v28, s[6:7]
.LBB12_155:
	s_or_saveexec_b32 s9, s9
	s_mov_b32 s10, 0
	s_xor_b32 exec_lo, exec_lo, s9
; %bb.156:
	s_delay_alu instid0(SALU_CYCLE_1)
	s_mov_b32 s10, exec_lo
; %bb.157:
	s_or_b32 exec_lo, exec_lo, s9
	v_mov_b32_e32 v10, v27
	s_and_b32 s9, s10, exec_lo
                                        ; implicit-def: $vgpr12
.LBB12_158:
	s_and_not1_saveexec_b32 s2, s2
; %bb.159:
	s_mov_b32 s3, exec_lo
                                        ; implicit-def: $vgpr10
; %bb.160:
	s_or_b32 exec_lo, exec_lo, s2
	s_delay_alu instid0(SALU_CYCLE_1)
	s_and_b32 s2, s9, exec_lo
	s_and_b32 s3, s3, exec_lo
                                        ; implicit-def: $vgpr25
                                        ; implicit-def: $vgpr13
                                        ; implicit-def: $vgpr22
.LBB12_161:
	s_and_not1_saveexec_b32 s8, s8
	s_cbranch_execz .LBB12_171
; %bb.162:
	s_mov_b32 s9, 0
	s_mov_b32 s4, exec_lo
	v_cmpx_lt_i64_e32 18, v[0:1]
	s_xor_b32 s4, exec_lo, s4
	s_cbranch_execz .LBB12_168
; %bb.163:
	s_mov_b32 s10, exec_lo
	v_cmpx_lt_i64_e32 19, v[0:1]
	s_xor_b32 s10, exec_lo, s10
; %bb.164:
	s_mov_b32 s9, exec_lo
                                        ; implicit-def: $vgpr22
; %bb.165:
	s_and_not1_saveexec_b32 s10, s10
	s_cbranch_execz .LBB12_167
; %bb.166:
	v_mov_b32_e32 v2, 0
                                        ; implicit-def: $vgpr13
	global_store_b8 v2, v22, s[6:7]
.LBB12_167:
	s_or_b32 exec_lo, exec_lo, s10
	s_delay_alu instid0(SALU_CYCLE_1)
	s_and_b32 s9, s9, exec_lo
                                        ; implicit-def: $vgpr25
.LBB12_168:
	s_and_not1_saveexec_b32 s4, s4
	s_cbranch_execz .LBB12_170
; %bb.169:
	v_mov_b32_e32 v2, 0
                                        ; implicit-def: $vgpr13
	global_store_b8 v2, v25, s[6:7]
.LBB12_170:
	s_or_b32 exec_lo, exec_lo, s4
	s_delay_alu instid0(SALU_CYCLE_1)
	s_and_b32 s4, s9, exec_lo
                                        ; implicit-def: $vgpr10
                                        ; implicit-def: $vgpr12
.LBB12_171:
	s_or_b32 exec_lo, exec_lo, s8
	s_delay_alu instid0(SALU_CYCLE_1)
	s_and_b32 s2, s2, exec_lo
	s_and_b32 s3, s3, exec_lo
	;; [unrolled: 1-line block ×3, first 2 shown]
                                        ; implicit-def: $vgpr19
                                        ; implicit-def: $vgpr14
                                        ; implicit-def: $vgpr16
                                        ; implicit-def: $vgpr23
                                        ; implicit-def: $vgpr26
.LBB12_172:
	s_and_not1_saveexec_b32 s5, s5
	s_cbranch_execz .LBB12_194
; %bb.173:
	s_mov_b32 s8, s2
	s_mov_b32 s9, exec_lo
	v_cmpx_lt_i64_e32 14, v[0:1]
	s_xor_b32 s9, exec_lo, s9
	s_cbranch_execz .LBB12_183
; %bb.174:
	s_mov_b32 s8, exec_lo
	v_cmpx_lt_i64_e32 15, v[0:1]
	s_xor_b32 s8, exec_lo, s8
	s_cbranch_execz .LBB12_180
; %bb.175:
	;; [unrolled: 5-line block ×3, first 2 shown]
	v_mov_b32_e32 v2, 0
                                        ; implicit-def: $vgpr23
	global_store_b8 v2, v26, s[6:7]
.LBB12_177:
	s_and_not1_saveexec_b32 s10, s10
	s_cbranch_execz .LBB12_179
; %bb.178:
	v_mov_b32_e32 v2, 0
	global_store_b8 v2, v23, s[6:7]
.LBB12_179:
	s_or_b32 exec_lo, exec_lo, s10
                                        ; implicit-def: $vgpr10
.LBB12_180:
	s_or_saveexec_b32 s8, s8
	s_mov_b32 s10, s2
	s_xor_b32 exec_lo, exec_lo, s8
; %bb.181:
	s_delay_alu instid0(SALU_CYCLE_1)
	s_or_b32 s10, s2, exec_lo
; %bb.182:
	s_or_b32 exec_lo, exec_lo, s8
	s_delay_alu instid0(SALU_CYCLE_1) | instskip(SKIP_1) | instid1(SALU_CYCLE_1)
	s_and_not1_b32 s8, s2, exec_lo
	s_and_b32 s10, s10, exec_lo
                                        ; implicit-def: $vgpr19
                                        ; implicit-def: $vgpr14
                                        ; implicit-def: $vgpr16
	s_or_b32 s8, s8, s10
.LBB12_183:
	s_or_saveexec_b32 s9, s9
	s_mov_b32 s10, s3
                                        ; implicit-def: $vgpr12
	s_xor_b32 exec_lo, exec_lo, s9
	s_cbranch_execz .LBB12_193
; %bb.184:
	s_mov_b32 s11, s3
	s_mov_b32 s12, s8
	s_mov_b32 s10, exec_lo
                                        ; implicit-def: $vgpr10
                                        ; implicit-def: $vgpr12
	v_cmpx_lt_i64_e32 12, v[0:1]
	s_xor_b32 s10, exec_lo, s10
	s_cbranch_execz .LBB12_190
; %bb.185:
	s_mov_b32 s11, s8
	s_mov_b32 s12, exec_lo
	v_cmpx_lt_i64_e32 13, v[0:1]
	s_xor_b32 s12, exec_lo, s12
; %bb.186:
	s_or_b32 s11, s8, exec_lo
                                        ; implicit-def: $vgpr14
; %bb.187:
	s_or_saveexec_b32 s13, s12
	s_mov_b32 s12, s3
	s_xor_b32 exec_lo, exec_lo, s13
; %bb.188:
	s_delay_alu instid0(SALU_CYCLE_1)
	s_or_b32 s12, s3, exec_lo
                                        ; implicit-def: $vgpr16
; %bb.189:
	s_or_b32 exec_lo, exec_lo, s13
	v_mov_b32_e32 v10, v16
	v_mov_b32_e32 v12, v14
	s_and_not1_b32 s13, s8, exec_lo
	s_and_b32 s11, s11, exec_lo
	s_and_not1_b32 s14, s3, exec_lo
	s_and_b32 s15, s12, exec_lo
	s_or_b32 s12, s13, s11
	s_or_b32 s11, s14, s15
                                        ; implicit-def: $vgpr19
.LBB12_190:
	s_and_not1_saveexec_b32 s10, s10
; %bb.191:
	v_mov_b32_e32 v12, v19
	s_or_b32 s11, s11, exec_lo
                                        ; implicit-def: $vgpr10
; %bb.192:
	s_or_b32 exec_lo, exec_lo, s10
	s_delay_alu instid0(SALU_CYCLE_1)
	s_and_not1_b32 s8, s8, exec_lo
	s_and_b32 s10, s12, exec_lo
	s_and_not1_b32 s12, s3, exec_lo
	s_and_b32 s11, s11, exec_lo
	s_or_b32 s8, s8, s10
	s_or_b32 s10, s12, s11
.LBB12_193:
	s_or_b32 exec_lo, exec_lo, s9
	s_delay_alu instid0(SALU_CYCLE_1)
	s_and_not1_b32 s2, s2, exec_lo
	s_and_b32 s8, s8, exec_lo
	s_and_not1_b32 s3, s3, exec_lo
	s_and_b32 s9, s10, exec_lo
	s_or_b32 s2, s2, s8
	s_or_b32 s3, s3, s9
                                        ; implicit-def: $vgpr13
.LBB12_194:
	s_or_b32 exec_lo, exec_lo, s5
	s_delay_alu instid0(SALU_CYCLE_1)
	s_and_b32 s2, s2, exec_lo
	s_and_b32 s3, s3, exec_lo
	s_and_b32 s4, s4, exec_lo
                                        ; implicit-def: $vgpr18
                                        ; implicit-def: $vgpr15
                                        ; implicit-def: $vgpr17
                                        ; implicit-def: $vgpr24
                                        ; implicit-def: $vgpr21
                                        ; implicit-def: $vgpr20
	s_and_not1_saveexec_b32 s1, s1
	s_cbranch_execz .LBB12_145
.LBB12_195:
	s_mov_b32 s8, -1
	s_mov_b32 s5, s4
	s_mov_b32 s10, s3
	;; [unrolled: 1-line block ×3, first 2 shown]
	s_mov_b32 s0, exec_lo
                                        ; implicit-def: $vgpr10
                                        ; implicit-def: $vgpr12
                                        ; implicit-def: $vgpr13
	v_cmpx_lt_i64_e32 5, v[0:1]
	s_cbranch_execz .LBB12_211
; %bb.196:
	s_mov_b32 s5, s4
	s_mov_b32 s8, exec_lo
                                        ; implicit-def: $vgpr13
	v_cmpx_lt_i64_e32 8, v[0:1]
	s_xor_b32 s8, exec_lo, s8
	s_cbranch_execz .LBB12_206
; %bb.197:
	s_mov_b32 s5, exec_lo
	v_cmpx_lt_i64_e32 9, v[0:1]
	s_xor_b32 s5, exec_lo, s5
	s_cbranch_execz .LBB12_203
; %bb.198:
	s_mov_b32 s9, exec_lo
	v_cmpx_lt_i64_e32 10, v[0:1]
	s_xor_b32 s9, exec_lo, s9
; %bb.199:
                                        ; implicit-def: $vgpr21
; %bb.200:
	s_delay_alu instid0(SALU_CYCLE_1)
	s_and_not1_saveexec_b32 s9, s9
; %bb.201:
	v_mov_b32_e32 v20, v21
; %bb.202:
	s_or_b32 exec_lo, exec_lo, s9
                                        ; implicit-def: $vgpr24
.LBB12_203:
	s_and_not1_saveexec_b32 s5, s5
; %bb.204:
	v_mov_b32_e32 v20, v24
; %bb.205:
	s_or_b32 exec_lo, exec_lo, s5
	s_delay_alu instid0(VALU_DEP_1)
	v_mov_b32_e32 v13, v20
	s_or_b32 s5, s4, exec_lo
                                        ; implicit-def: $vgpr18
                                        ; implicit-def: $vgpr15
                                        ; implicit-def: $vgpr17
.LBB12_206:
	s_or_saveexec_b32 s8, s8
	s_mov_b32 s11, s3
	s_mov_b32 s10, s2
                                        ; implicit-def: $vgpr10
                                        ; implicit-def: $vgpr12
	s_xor_b32 exec_lo, exec_lo, s8
	s_cbranch_execz .LBB12_210
; %bb.207:
	s_mov_b32 s10, -1
	s_mov_b32 s9, s5
	s_mov_b32 s11, s3
	s_mov_b32 s12, exec_lo
	v_cmpx_lt_i64_e32 6, v[0:1]
; %bb.208:
	v_cmp_lt_i64_e32 vcc_lo, 7, v[0:1]
	s_and_not1_b32 s9, s5, exec_lo
	s_xor_b32 s10, exec_lo, -1
	s_or_b32 s11, s3, exec_lo
                                        ; implicit-def: $vgpr18
	s_and_b32 s13, vcc_lo, exec_lo
	s_delay_alu instid0(SALU_CYCLE_1)
	s_or_b32 s9, s9, s13
; %bb.209:
	s_or_b32 exec_lo, exec_lo, s12
	s_delay_alu instid0(SALU_CYCLE_1)
	s_and_not1_b32 s12, s2, exec_lo
	s_and_b32 s10, s10, exec_lo
	v_dual_mov_b32 v10, v18 :: v_dual_mov_b32 v13, v17
	v_mov_b32_e32 v12, v15
	s_or_b32 s10, s12, s10
	s_and_not1_b32 s12, s3, exec_lo
	s_and_b32 s11, s11, exec_lo
	s_and_not1_b32 s5, s5, exec_lo
	s_and_b32 s9, s9, exec_lo
	s_or_b32 s11, s12, s11
	s_or_b32 s5, s5, s9
.LBB12_210:
	s_or_b32 exec_lo, exec_lo, s8
	s_delay_alu instid0(SALU_CYCLE_1)
	s_and_not1_b32 s9, s2, exec_lo
	s_and_b32 s10, s10, exec_lo
	s_and_b32 s11, s11, exec_lo
	s_or_b32 s9, s9, s10
	s_and_not1_b32 s10, s3, exec_lo
	s_and_not1_b32 s12, s4, exec_lo
	s_and_b32 s5, s5, exec_lo
	s_xor_b32 s8, exec_lo, -1
	s_or_b32 s10, s10, s11
	s_or_b32 s5, s12, s5
.LBB12_211:
	s_or_b32 exec_lo, exec_lo, s0
	s_delay_alu instid0(SALU_CYCLE_1)
	s_and_not1_b32 s2, s2, exec_lo
	s_and_b32 s9, s9, exec_lo
	s_and_b32 s0, s8, exec_lo
	s_and_not1_b32 s3, s3, exec_lo
	s_and_b32 s8, s10, exec_lo
	s_and_not1_b32 s4, s4, exec_lo
	s_and_b32 s5, s5, exec_lo
	s_or_b32 s2, s2, s9
	s_or_b32 s3, s3, s8
	;; [unrolled: 1-line block ×3, first 2 shown]
	s_or_b32 exec_lo, exec_lo, s1
	s_and_saveexec_b32 s1, s4
	s_cbranch_execz .LBB12_146
.LBB12_212:
	v_mov_b32_e32 v2, 0
	s_and_not1_b32 s3, s3, exec_lo
                                        ; implicit-def: $vgpr10
                                        ; implicit-def: $vgpr12
	global_store_b8 v2, v13, s[6:7]
	s_or_b32 exec_lo, exec_lo, s1
	s_and_saveexec_b32 s1, s3
	s_cbranch_execz .LBB12_147
.LBB12_213:
	v_mov_b32_e32 v2, 0
                                        ; implicit-def: $vgpr10
	global_store_b8 v2, v12, s[6:7]
	s_or_b32 exec_lo, exec_lo, s1
	s_and_saveexec_b32 s1, s2
	s_delay_alu instid0(SALU_CYCLE_1)
	s_xor_b32 s1, exec_lo, s1
	s_cbranch_execz .LBB12_148
.LBB12_214:
	v_mov_b32_e32 v2, 0
	global_store_b8 v2, v10, s[6:7]
	s_or_b32 exec_lo, exec_lo, s1
	s_delay_alu instid0(SALU_CYCLE_1)
	s_and_b32 exec_lo, exec_lo, s0
	s_cbranch_execz .LBB12_149
.LBB12_215:
	s_mov_b32 s0, exec_lo
	v_cmpx_lt_i64_e32 2, v[0:1]
	s_xor_b32 s0, exec_lo, s0
	s_cbranch_execz .LBB12_225
; %bb.216:
	s_mov_b32 s1, exec_lo
	v_cmpx_lt_i64_e32 3, v[0:1]
	s_xor_b32 s1, exec_lo, s1
	s_cbranch_execz .LBB12_222
; %bb.217:
	s_mov_b32 s2, exec_lo
	v_cmpx_lt_i64_e32 4, v[0:1]
	s_xor_b32 s2, exec_lo, s2
	s_cbranch_execz .LBB12_219
; %bb.218:
	v_mov_b32_e32 v0, 0
                                        ; implicit-def: $vgpr6
	global_store_b8 v0, v9, s[6:7]
.LBB12_219:
	s_and_not1_saveexec_b32 s2, s2
	s_cbranch_execz .LBB12_221
; %bb.220:
	v_mov_b32_e32 v0, 0
	global_store_b8 v0, v6, s[6:7]
.LBB12_221:
	s_or_b32 exec_lo, exec_lo, s2
                                        ; implicit-def: $vgpr8
.LBB12_222:
	s_and_not1_saveexec_b32 s1, s1
	s_cbranch_execz .LBB12_224
; %bb.223:
	v_mov_b32_e32 v0, 0
	global_store_b8 v0, v8, s[6:7]
.LBB12_224:
	s_or_b32 exec_lo, exec_lo, s1
                                        ; implicit-def: $vgpr0_vgpr1
                                        ; implicit-def: $vgpr7
                                        ; implicit-def: $vgpr4
                                        ; implicit-def: $vgpr5
.LBB12_225:
	s_and_not1_saveexec_b32 s0, s0
	s_cbranch_execz .LBB12_149
; %bb.226:
	s_mov_b32 s0, exec_lo
	v_cmpx_lt_i64_e32 1, v[0:1]
	s_xor_b32 s0, exec_lo, s0
	s_cbranch_execz .LBB12_228
; %bb.227:
	v_mov_b32_e32 v0, 0
                                        ; implicit-def: $vgpr4
                                        ; implicit-def: $vgpr5
	global_store_b8 v0, v7, s[6:7]
                                        ; implicit-def: $vgpr0_vgpr1
.LBB12_228:
	s_and_not1_saveexec_b32 s0, s0
	s_cbranch_execz .LBB12_149
; %bb.229:
	s_mov_b32 s0, exec_lo
	v_cmpx_ne_u64_e32 1, v[0:1]
	s_xor_b32 s0, exec_lo, s0
	s_cbranch_execz .LBB12_231
; %bb.230:
	v_mov_b32_e32 v0, 0
                                        ; implicit-def: $vgpr4
	global_store_b8 v0, v5, s[6:7]
.LBB12_231:
	s_and_not1_saveexec_b32 s0, s0
	s_cbranch_execz .LBB12_149
; %bb.232:
	v_mov_b32_e32 v0, 0
	global_store_b8 v0, v4, s[6:7]
	s_nop 0
	s_sendmsg sendmsg(MSG_DEALLOC_VGPRS)
	s_endpgm
	.section	.rodata,"a",@progbits
	.p2align	6, 0x0
	.amdhsa_kernel _ZN7rocprim17ROCPRIM_304000_NS6detail20lookback_scan_kernelILNS1_25lookback_scan_determinismE0ELb0ENS1_19wrapped_scan_configINS0_14default_configEaEEPKaPaSt10multipliesIaEaaNS1_19lookback_scan_stateIaLb0ELb1EEEEEvT2_T3_mT5_T4_T7_jPT6_SK_bb
		.amdhsa_group_segment_fixed_size 6144
		.amdhsa_private_segment_fixed_size 0
		.amdhsa_kernarg_size 68
		.amdhsa_user_sgpr_count 15
		.amdhsa_user_sgpr_dispatch_ptr 0
		.amdhsa_user_sgpr_queue_ptr 0
		.amdhsa_user_sgpr_kernarg_segment_ptr 1
		.amdhsa_user_sgpr_dispatch_id 0
		.amdhsa_user_sgpr_private_segment_size 0
		.amdhsa_wavefront_size32 1
		.amdhsa_uses_dynamic_stack 0
		.amdhsa_enable_private_segment 0
		.amdhsa_system_sgpr_workgroup_id_x 1
		.amdhsa_system_sgpr_workgroup_id_y 0
		.amdhsa_system_sgpr_workgroup_id_z 0
		.amdhsa_system_sgpr_workgroup_info 0
		.amdhsa_system_vgpr_workitem_id 0
		.amdhsa_next_free_vgpr 53
		.amdhsa_next_free_sgpr 17
		.amdhsa_reserve_vcc 1
		.amdhsa_float_round_mode_32 0
		.amdhsa_float_round_mode_16_64 0
		.amdhsa_float_denorm_mode_32 3
		.amdhsa_float_denorm_mode_16_64 3
		.amdhsa_dx10_clamp 1
		.amdhsa_ieee_mode 1
		.amdhsa_fp16_overflow 0
		.amdhsa_workgroup_processor_mode 1
		.amdhsa_memory_ordered 1
		.amdhsa_forward_progress 0
		.amdhsa_shared_vgpr_count 0
		.amdhsa_exception_fp_ieee_invalid_op 0
		.amdhsa_exception_fp_denorm_src 0
		.amdhsa_exception_fp_ieee_div_zero 0
		.amdhsa_exception_fp_ieee_overflow 0
		.amdhsa_exception_fp_ieee_underflow 0
		.amdhsa_exception_fp_ieee_inexact 0
		.amdhsa_exception_int_div_zero 0
	.end_amdhsa_kernel
	.section	.text._ZN7rocprim17ROCPRIM_304000_NS6detail20lookback_scan_kernelILNS1_25lookback_scan_determinismE0ELb0ENS1_19wrapped_scan_configINS0_14default_configEaEEPKaPaSt10multipliesIaEaaNS1_19lookback_scan_stateIaLb0ELb1EEEEEvT2_T3_mT5_T4_T7_jPT6_SK_bb,"axG",@progbits,_ZN7rocprim17ROCPRIM_304000_NS6detail20lookback_scan_kernelILNS1_25lookback_scan_determinismE0ELb0ENS1_19wrapped_scan_configINS0_14default_configEaEEPKaPaSt10multipliesIaEaaNS1_19lookback_scan_stateIaLb0ELb1EEEEEvT2_T3_mT5_T4_T7_jPT6_SK_bb,comdat
.Lfunc_end12:
	.size	_ZN7rocprim17ROCPRIM_304000_NS6detail20lookback_scan_kernelILNS1_25lookback_scan_determinismE0ELb0ENS1_19wrapped_scan_configINS0_14default_configEaEEPKaPaSt10multipliesIaEaaNS1_19lookback_scan_stateIaLb0ELb1EEEEEvT2_T3_mT5_T4_T7_jPT6_SK_bb, .Lfunc_end12-_ZN7rocprim17ROCPRIM_304000_NS6detail20lookback_scan_kernelILNS1_25lookback_scan_determinismE0ELb0ENS1_19wrapped_scan_configINS0_14default_configEaEEPKaPaSt10multipliesIaEaaNS1_19lookback_scan_stateIaLb0ELb1EEEEEvT2_T3_mT5_T4_T7_jPT6_SK_bb
                                        ; -- End function
	.section	.AMDGPU.csdata,"",@progbits
; Kernel info:
; codeLenInByte = 9836
; NumSgprs: 19
; NumVgprs: 53
; ScratchSize: 0
; MemoryBound: 0
; FloatMode: 240
; IeeeMode: 1
; LDSByteSize: 6144 bytes/workgroup (compile time only)
; SGPRBlocks: 2
; VGPRBlocks: 6
; NumSGPRsForWavesPerEU: 19
; NumVGPRsForWavesPerEU: 53
; Occupancy: 16
; WaveLimiterHint : 1
; COMPUTE_PGM_RSRC2:SCRATCH_EN: 0
; COMPUTE_PGM_RSRC2:USER_SGPR: 15
; COMPUTE_PGM_RSRC2:TRAP_HANDLER: 0
; COMPUTE_PGM_RSRC2:TGID_X_EN: 1
; COMPUTE_PGM_RSRC2:TGID_Y_EN: 0
; COMPUTE_PGM_RSRC2:TGID_Z_EN: 0
; COMPUTE_PGM_RSRC2:TIDIG_COMP_CNT: 0
	.section	.text._ZN7rocprim17ROCPRIM_304000_NS6detail16transform_kernelINS1_24wrapped_transform_configINS0_14default_configEaEEaPaS6_NS0_8identityIaEEEEvT1_mT2_T3_,"axG",@progbits,_ZN7rocprim17ROCPRIM_304000_NS6detail16transform_kernelINS1_24wrapped_transform_configINS0_14default_configEaEEaPaS6_NS0_8identityIaEEEEvT1_mT2_T3_,comdat
	.protected	_ZN7rocprim17ROCPRIM_304000_NS6detail16transform_kernelINS1_24wrapped_transform_configINS0_14default_configEaEEaPaS6_NS0_8identityIaEEEEvT1_mT2_T3_ ; -- Begin function _ZN7rocprim17ROCPRIM_304000_NS6detail16transform_kernelINS1_24wrapped_transform_configINS0_14default_configEaEEaPaS6_NS0_8identityIaEEEEvT1_mT2_T3_
	.globl	_ZN7rocprim17ROCPRIM_304000_NS6detail16transform_kernelINS1_24wrapped_transform_configINS0_14default_configEaEEaPaS6_NS0_8identityIaEEEEvT1_mT2_T3_
	.p2align	8
	.type	_ZN7rocprim17ROCPRIM_304000_NS6detail16transform_kernelINS1_24wrapped_transform_configINS0_14default_configEaEEaPaS6_NS0_8identityIaEEEEvT1_mT2_T3_,@function
_ZN7rocprim17ROCPRIM_304000_NS6detail16transform_kernelINS1_24wrapped_transform_configINS0_14default_configEaEEaPaS6_NS0_8identityIaEEEEvT1_mT2_T3_: ; @_ZN7rocprim17ROCPRIM_304000_NS6detail16transform_kernelINS1_24wrapped_transform_configINS0_14default_configEaEEaPaS6_NS0_8identityIaEEEEvT1_mT2_T3_
; %bb.0:
	s_clause 0x2
	s_load_b32 s2, s[0:1], 0x20
	s_load_b128 s[4:7], s[0:1], 0x0
	s_load_b64 s[8:9], s[0:1], 0x10
	s_lshl_b32 s3, s15, 12
	s_waitcnt lgkmcnt(0)
	s_add_i32 s2, s2, -1
	s_add_u32 s0, s4, s3
	s_addc_u32 s1, s5, 0
	v_add_co_u32 v1, s0, s0, v0
	s_delay_alu instid0(VALU_DEP_1)
	v_add_co_ci_u32_e64 v2, null, s1, 0, s0
	s_mov_b32 s4, 0
	s_cmp_lg_u32 s15, s2
	s_mov_b32 s0, -1
	s_cbranch_scc0 .LBB13_2
; %bb.1:
	s_clause 0x3
	global_load_u8 v6, v[1:2], off
	global_load_u8 v7, v[1:2], off offset:1024
	global_load_u8 v8, v[1:2], off offset:2048
	;; [unrolled: 1-line block ×3, first 2 shown]
	s_add_u32 s0, s8, s3
	s_addc_u32 s1, s9, 0
	v_add_co_u32 v4, s0, s0, v0
	s_delay_alu instid0(VALU_DEP_1)
	v_add_co_ci_u32_e64 v5, null, s1, 0, s0
	s_mov_b32 s4, -1
	s_waitcnt vmcnt(3)
	global_store_b8 v[4:5], v6, off
	s_waitcnt vmcnt(2)
	global_store_b8 v[4:5], v7, off offset:1024
	s_waitcnt vmcnt(1)
	global_store_b8 v[4:5], v8, off offset:2048
	s_cbranch_execz .LBB13_3
	s_branch .LBB13_17
.LBB13_2:
                                        ; implicit-def: $vgpr3
	s_and_not1_b32 vcc_lo, exec_lo, s0
	s_cbranch_vccnz .LBB13_17
.LBB13_3:
	s_sub_i32 s2, s6, s3
                                        ; implicit-def: $vgpr4
	s_delay_alu instid0(SALU_CYCLE_1)
	v_cmp_gt_u32_e32 vcc_lo, s2, v0
	s_and_saveexec_b32 s0, vcc_lo
	s_cbranch_execz .LBB13_5
; %bb.4:
	global_load_u8 v4, v[1:2], off
.LBB13_5:
	s_or_b32 exec_lo, exec_lo, s0
	s_waitcnt vmcnt(0)
	v_or_b32_e32 v3, 0x400, v0
                                        ; implicit-def: $vgpr6
	s_delay_alu instid0(VALU_DEP_1) | instskip(NEXT) | instid1(VALU_DEP_1)
	v_cmp_gt_u32_e64 s0, s2, v3
	s_and_saveexec_b32 s1, s0
	s_cbranch_execz .LBB13_7
; %bb.6:
	global_load_u8 v6, v[1:2], off offset:1024
.LBB13_7:
	s_or_b32 exec_lo, exec_lo, s1
	v_or_b32_e32 v3, 0x800, v0
	s_delay_alu instid0(VALU_DEP_1) | instskip(NEXT) | instid1(VALU_DEP_1)
	v_cmp_gt_u32_e64 s1, s2, v3
                                        ; implicit-def: $vgpr3
	s_and_saveexec_b32 s5, s1
	s_cbranch_execz .LBB13_9
; %bb.8:
	global_load_u8 v3, v[1:2], off offset:2048
.LBB13_9:
	s_or_b32 exec_lo, exec_lo, s5
	v_or_b32_e32 v5, 0xc00, v0
	s_delay_alu instid0(VALU_DEP_1) | instskip(NEXT) | instid1(VALU_DEP_1)
	v_cmp_gt_u32_e64 s2, s2, v5
                                        ; implicit-def: $vgpr5
	s_and_saveexec_b32 s5, s2
	s_cbranch_execz .LBB13_11
; %bb.10:
	global_load_u8 v5, v[1:2], off offset:3072
.LBB13_11:
	s_or_b32 exec_lo, exec_lo, s5
	v_and_b32_e32 v1, 0xff, v4
	s_waitcnt vmcnt(0)
	v_lshlrev_b16 v2, 8, v6
	v_and_b32_e32 v4, 0xff, v3
	v_lshlrev_b16 v6, 8, v5
	s_add_u32 s5, s8, s3
	s_addc_u32 s6, s9, 0
	v_or_b32_e32 v1, v1, v2
	s_delay_alu instid0(VALU_DEP_2) | instskip(NEXT) | instid1(VALU_DEP_2)
	v_or_b32_e32 v2, v4, v6
	v_and_b32_e32 v1, 0xffff, v1
	s_delay_alu instid0(VALU_DEP_2) | instskip(NEXT) | instid1(VALU_DEP_1)
	v_lshlrev_b32_e32 v2, 16, v2
	v_or_b32_e32 v4, v1, v2
	v_add_co_u32 v1, s5, s5, v0
	s_delay_alu instid0(VALU_DEP_1)
	v_add_co_ci_u32_e64 v2, null, s6, 0, s5
	s_and_saveexec_b32 s5, vcc_lo
	s_cbranch_execnz .LBB13_20
; %bb.12:
	s_or_b32 exec_lo, exec_lo, s5
	s_and_saveexec_b32 s5, s0
	s_cbranch_execnz .LBB13_21
.LBB13_13:
	s_or_b32 exec_lo, exec_lo, s5
	v_perm_b32 v4, v4, v4, 0x7060104
	s_and_saveexec_b32 s0, s1
	s_cbranch_execnz .LBB13_22
.LBB13_14:
	s_or_b32 exec_lo, exec_lo, s0
                                        ; implicit-def: $vgpr3
	s_and_saveexec_b32 s0, s2
.LBB13_15:
	v_lshlrev_b32_e32 v1, 24, v5
	s_or_b32 s4, s4, exec_lo
	s_delay_alu instid0(VALU_DEP_1) | instskip(NEXT) | instid1(VALU_DEP_1)
	v_cndmask_b32_e64 v1, v4, v1, s2
	v_lshrrev_b32_e32 v3, 24, v1
.LBB13_16:
	s_or_b32 exec_lo, exec_lo, s0
.LBB13_17:
	s_and_saveexec_b32 s0, s4
	s_cbranch_execnz .LBB13_19
; %bb.18:
	s_nop 0
	s_sendmsg sendmsg(MSG_DEALLOC_VGPRS)
	s_endpgm
.LBB13_19:
	s_add_u32 s0, s8, s3
	s_addc_u32 s1, s9, 0
	v_add_co_u32 v0, s0, s0, v0
	s_delay_alu instid0(VALU_DEP_1)
	v_add_co_ci_u32_e64 v1, null, s1, 0, s0
	s_waitcnt vmcnt(0)
	global_store_b8 v[0:1], v3, off offset:3072
	s_nop 0
	s_sendmsg sendmsg(MSG_DEALLOC_VGPRS)
	s_endpgm
.LBB13_20:
	global_store_b8 v[1:2], v4, off
	s_or_b32 exec_lo, exec_lo, s5
	s_and_saveexec_b32 s5, s0
	s_cbranch_execz .LBB13_13
.LBB13_21:
	v_lshrrev_b32_e32 v6, 8, v4
	global_store_b8 v[1:2], v6, off offset:1024
	s_or_b32 exec_lo, exec_lo, s5
	v_perm_b32 v4, v4, v4, 0x7060104
	s_and_saveexec_b32 s0, s1
	s_cbranch_execz .LBB13_14
.LBB13_22:
	v_lshlrev_b32_e32 v3, 16, v3
	s_delay_alu instid0(VALU_DEP_1)
	v_cndmask_b32_e64 v3, v4, v3, s1
	global_store_d16_hi_b8 v[1:2], v3, off offset:2048
	s_or_b32 exec_lo, exec_lo, s0
                                        ; implicit-def: $vgpr3
	s_and_saveexec_b32 s0, s2
	s_cbranch_execnz .LBB13_15
	s_branch .LBB13_16
	.section	.rodata,"a",@progbits
	.p2align	6, 0x0
	.amdhsa_kernel _ZN7rocprim17ROCPRIM_304000_NS6detail16transform_kernelINS1_24wrapped_transform_configINS0_14default_configEaEEaPaS6_NS0_8identityIaEEEEvT1_mT2_T3_
		.amdhsa_group_segment_fixed_size 0
		.amdhsa_private_segment_fixed_size 0
		.amdhsa_kernarg_size 288
		.amdhsa_user_sgpr_count 15
		.amdhsa_user_sgpr_dispatch_ptr 0
		.amdhsa_user_sgpr_queue_ptr 0
		.amdhsa_user_sgpr_kernarg_segment_ptr 1
		.amdhsa_user_sgpr_dispatch_id 0
		.amdhsa_user_sgpr_private_segment_size 0
		.amdhsa_wavefront_size32 1
		.amdhsa_uses_dynamic_stack 0
		.amdhsa_enable_private_segment 0
		.amdhsa_system_sgpr_workgroup_id_x 1
		.amdhsa_system_sgpr_workgroup_id_y 0
		.amdhsa_system_sgpr_workgroup_id_z 0
		.amdhsa_system_sgpr_workgroup_info 0
		.amdhsa_system_vgpr_workitem_id 0
		.amdhsa_next_free_vgpr 9
		.amdhsa_next_free_sgpr 16
		.amdhsa_reserve_vcc 1
		.amdhsa_float_round_mode_32 0
		.amdhsa_float_round_mode_16_64 0
		.amdhsa_float_denorm_mode_32 3
		.amdhsa_float_denorm_mode_16_64 3
		.amdhsa_dx10_clamp 1
		.amdhsa_ieee_mode 1
		.amdhsa_fp16_overflow 0
		.amdhsa_workgroup_processor_mode 1
		.amdhsa_memory_ordered 1
		.amdhsa_forward_progress 0
		.amdhsa_shared_vgpr_count 0
		.amdhsa_exception_fp_ieee_invalid_op 0
		.amdhsa_exception_fp_denorm_src 0
		.amdhsa_exception_fp_ieee_div_zero 0
		.amdhsa_exception_fp_ieee_overflow 0
		.amdhsa_exception_fp_ieee_underflow 0
		.amdhsa_exception_fp_ieee_inexact 0
		.amdhsa_exception_int_div_zero 0
	.end_amdhsa_kernel
	.section	.text._ZN7rocprim17ROCPRIM_304000_NS6detail16transform_kernelINS1_24wrapped_transform_configINS0_14default_configEaEEaPaS6_NS0_8identityIaEEEEvT1_mT2_T3_,"axG",@progbits,_ZN7rocprim17ROCPRIM_304000_NS6detail16transform_kernelINS1_24wrapped_transform_configINS0_14default_configEaEEaPaS6_NS0_8identityIaEEEEvT1_mT2_T3_,comdat
.Lfunc_end13:
	.size	_ZN7rocprim17ROCPRIM_304000_NS6detail16transform_kernelINS1_24wrapped_transform_configINS0_14default_configEaEEaPaS6_NS0_8identityIaEEEEvT1_mT2_T3_, .Lfunc_end13-_ZN7rocprim17ROCPRIM_304000_NS6detail16transform_kernelINS1_24wrapped_transform_configINS0_14default_configEaEEaPaS6_NS0_8identityIaEEEEvT1_mT2_T3_
                                        ; -- End function
	.section	.AMDGPU.csdata,"",@progbits
; Kernel info:
; codeLenInByte = 704
; NumSgprs: 18
; NumVgprs: 9
; ScratchSize: 0
; MemoryBound: 0
; FloatMode: 240
; IeeeMode: 1
; LDSByteSize: 0 bytes/workgroup (compile time only)
; SGPRBlocks: 2
; VGPRBlocks: 1
; NumSGPRsForWavesPerEU: 18
; NumVGPRsForWavesPerEU: 9
; Occupancy: 16
; WaveLimiterHint : 1
; COMPUTE_PGM_RSRC2:SCRATCH_EN: 0
; COMPUTE_PGM_RSRC2:USER_SGPR: 15
; COMPUTE_PGM_RSRC2:TRAP_HANDLER: 0
; COMPUTE_PGM_RSRC2:TGID_X_EN: 1
; COMPUTE_PGM_RSRC2:TGID_Y_EN: 0
; COMPUTE_PGM_RSRC2:TGID_Z_EN: 0
; COMPUTE_PGM_RSRC2:TIDIG_COMP_CNT: 0
	.section	.text._ZN7rocprim17ROCPRIM_304000_NS6detail18single_scan_kernelILb0ENS1_19wrapped_scan_configINS0_14default_configEaEEPKaPaSt10multipliesIaEaaEEvT1_mT4_T2_T3_,"axG",@progbits,_ZN7rocprim17ROCPRIM_304000_NS6detail18single_scan_kernelILb0ENS1_19wrapped_scan_configINS0_14default_configEaEEPKaPaSt10multipliesIaEaaEEvT1_mT4_T2_T3_,comdat
	.protected	_ZN7rocprim17ROCPRIM_304000_NS6detail18single_scan_kernelILb0ENS1_19wrapped_scan_configINS0_14default_configEaEEPKaPaSt10multipliesIaEaaEEvT1_mT4_T2_T3_ ; -- Begin function _ZN7rocprim17ROCPRIM_304000_NS6detail18single_scan_kernelILb0ENS1_19wrapped_scan_configINS0_14default_configEaEEPKaPaSt10multipliesIaEaaEEvT1_mT4_T2_T3_
	.globl	_ZN7rocprim17ROCPRIM_304000_NS6detail18single_scan_kernelILb0ENS1_19wrapped_scan_configINS0_14default_configEaEEPKaPaSt10multipliesIaEaaEEvT1_mT4_T2_T3_
	.p2align	8
	.type	_ZN7rocprim17ROCPRIM_304000_NS6detail18single_scan_kernelILb0ENS1_19wrapped_scan_configINS0_14default_configEaEEPKaPaSt10multipliesIaEaaEEvT1_mT4_T2_T3_,@function
_ZN7rocprim17ROCPRIM_304000_NS6detail18single_scan_kernelILb0ENS1_19wrapped_scan_configINS0_14default_configEaEEPKaPaSt10multipliesIaEaaEEvT1_mT4_T2_T3_: ; @_ZN7rocprim17ROCPRIM_304000_NS6detail18single_scan_kernelILb0ENS1_19wrapped_scan_configINS0_14default_configEaEEPKaPaSt10multipliesIaEaaEEvT1_mT4_T2_T3_
; %bb.0:
	s_load_b128 s[24:27], s[0:1], 0x0
	v_mov_b32_e32 v1, 0
	s_waitcnt lgkmcnt(0)
	global_load_u8 v3, v1, s[24:25]
	v_add_co_u32 v1, s2, s24, v0
	s_delay_alu instid0(VALU_DEP_1)
	v_add_co_ci_u32_e64 v2, null, s25, 0, s2
	v_cmp_gt_u32_e32 vcc_lo, s26, v0
	s_waitcnt vmcnt(0)
	v_mov_b32_e32 v4, v3
	s_and_saveexec_b32 s2, vcc_lo
	s_cbranch_execz .LBB14_2
; %bb.1:
	global_load_u8 v4, v[1:2], off
.LBB14_2:
	s_or_b32 exec_lo, exec_lo, s2
	v_or_b32_e32 v5, 0x100, v0
	s_delay_alu instid0(VALU_DEP_1) | instskip(SKIP_1) | instid1(VALU_DEP_2)
	v_cmp_gt_u32_e64 s2, s26, v5
	v_mov_b32_e32 v5, v3
	s_and_saveexec_b32 s3, s2
	s_cbranch_execz .LBB14_4
; %bb.3:
	global_load_u8 v5, v[1:2], off offset:256
.LBB14_4:
	s_or_b32 exec_lo, exec_lo, s3
	v_or_b32_e32 v6, 0x200, v0
	s_delay_alu instid0(VALU_DEP_1) | instskip(SKIP_1) | instid1(VALU_DEP_2)
	v_cmp_gt_u32_e64 s3, s26, v6
	v_mov_b32_e32 v6, v3
	s_and_saveexec_b32 s4, s3
	s_cbranch_execz .LBB14_6
; %bb.5:
	global_load_u8 v6, v[1:2], off offset:512
.LBB14_6:
	;; [unrolled: 10-line block ×15, first 2 shown]
	s_or_b32 exec_lo, exec_lo, s17
	v_or_b32_e32 v20, 0x1000, v0
	s_delay_alu instid0(VALU_DEP_1) | instskip(SKIP_1) | instid1(VALU_DEP_2)
	v_cmp_gt_u32_e64 s17, s26, v20
	v_mov_b32_e32 v20, v3
	s_and_saveexec_b32 s19, s17
	s_cbranch_execz .LBB14_34
; %bb.33:
	v_add_co_u32 v20, s18, 0x1000, v1
	s_delay_alu instid0(VALU_DEP_1)
	v_add_co_ci_u32_e64 v21, s18, 0, v2, s18
	global_load_u8 v20, v[20:21], off
.LBB14_34:
	s_or_b32 exec_lo, exec_lo, s19
	v_or_b32_e32 v21, 0x1100, v0
	s_delay_alu instid0(VALU_DEP_1) | instskip(SKIP_1) | instid1(VALU_DEP_2)
	v_cmp_gt_u32_e64 s18, s26, v21
	v_mov_b32_e32 v21, v3
	s_and_saveexec_b32 s20, s18
	s_cbranch_execz .LBB14_36
; %bb.35:
	v_add_co_u32 v21, s19, 0x1000, v1
	s_delay_alu instid0(VALU_DEP_1)
	v_add_co_ci_u32_e64 v22, s19, 0, v2, s19
	global_load_u8 v21, v[21:22], off offset:256
.LBB14_36:
	s_or_b32 exec_lo, exec_lo, s20
	v_or_b32_e32 v22, 0x1200, v0
	s_delay_alu instid0(VALU_DEP_1) | instskip(SKIP_1) | instid1(VALU_DEP_2)
	v_cmp_gt_u32_e64 s19, s26, v22
	v_mov_b32_e32 v22, v3
	s_and_saveexec_b32 s21, s19
	s_cbranch_execz .LBB14_38
; %bb.37:
	v_add_co_u32 v22, s20, 0x1000, v1
	s_delay_alu instid0(VALU_DEP_1)
	v_add_co_ci_u32_e64 v23, s20, 0, v2, s20
	global_load_u8 v22, v[22:23], off offset:512
.LBB14_38:
	;; [unrolled: 13-line block ×6, first 2 shown]
	s_or_b32 exec_lo, exec_lo, s25
	v_or_b32_e32 v27, 0x1700, v0
	s_delay_alu instid0(VALU_DEP_1) | instskip(NEXT) | instid1(VALU_DEP_1)
	v_cmp_gt_u32_e64 s24, s26, v27
	s_and_saveexec_b32 s26, s24
	s_cbranch_execz .LBB14_48
; %bb.47:
	v_add_co_u32 v1, s25, 0x1000, v1
	s_delay_alu instid0(VALU_DEP_1)
	v_add_co_ci_u32_e64 v2, s25, 0, v2, s25
	global_load_u8 v3, v[1:2], off offset:1792
.LBB14_48:
	s_or_b32 exec_lo, exec_lo, s26
	s_waitcnt vmcnt(0)
	ds_store_b8 v0, v4
	ds_store_b8 v0, v5 offset:256
	ds_store_b8 v0, v6 offset:512
	;; [unrolled: 1-line block ×15, first 2 shown]
	v_mad_u32_u24 v5, v0, 23, v0
	ds_store_b8 v0, v20 offset:4096
	ds_store_b8 v0, v21 offset:4352
	;; [unrolled: 1-line block ×8, first 2 shown]
	s_waitcnt lgkmcnt(0)
	s_barrier
	buffer_gl0_inv
	ds_load_2addr_b64 v[1:4], v5 offset1:1
	ds_load_b64 v[5:6], v5 offset:16
	s_mov_b32 s26, exec_lo
	s_waitcnt lgkmcnt(0)
	s_barrier
	buffer_gl0_inv
	v_lshrrev_b32_e32 v14, 8, v1
	v_lshrrev_b32_e32 v15, 16, v1
	;; [unrolled: 1-line block ×5, first 2 shown]
	v_mul_lo_u16 v7, v14, v1
	v_lshrrev_b32_e32 v20, 24, v2
	v_lshrrev_b32_e32 v21, 8, v3
	v_lshrrev_b32_e32 v22, 16, v3
	v_lshrrev_b32_e32 v23, 24, v3
	v_mul_lo_u16 v7, v7, v15
	v_lshrrev_b32_e32 v24, 8, v4
	v_lshrrev_b32_e32 v16, 16, v4
	v_lshrrev_b32_e32 v13, 24, v4
	v_lshrrev_b32_e32 v12, 8, v5
	;; [unrolled: 5-line block ×3, first 2 shown]
	v_mul_lo_u16 v7, v7, v2
	s_delay_alu instid0(VALU_DEP_1) | instskip(NEXT) | instid1(VALU_DEP_1)
	v_mul_lo_u16 v7, v7, v18
	v_mul_lo_u16 v7, v7, v19
	s_delay_alu instid0(VALU_DEP_1) | instskip(NEXT) | instid1(VALU_DEP_1)
	v_mul_lo_u16 v7, v7, v20
	v_mul_lo_u16 v7, v7, v3
	s_delay_alu instid0(VALU_DEP_1) | instskip(NEXT) | instid1(VALU_DEP_1)
	v_mul_lo_u16 v7, v7, v21
	v_mul_lo_u16 v7, v7, v22
	s_delay_alu instid0(VALU_DEP_1) | instskip(NEXT) | instid1(VALU_DEP_1)
	v_mul_lo_u16 v7, v7, v23
	v_mul_lo_u16 v7, v7, v4
	s_delay_alu instid0(VALU_DEP_1) | instskip(NEXT) | instid1(VALU_DEP_1)
	v_mul_lo_u16 v7, v7, v24
	v_mul_lo_u16 v7, v7, v16
	s_delay_alu instid0(VALU_DEP_1) | instskip(NEXT) | instid1(VALU_DEP_1)
	v_mul_lo_u16 v7, v7, v13
	v_mul_lo_u16 v7, v7, v5
	s_delay_alu instid0(VALU_DEP_1) | instskip(NEXT) | instid1(VALU_DEP_1)
	v_mul_lo_u16 v7, v7, v12
	v_mul_lo_u16 v7, v7, v11
	s_delay_alu instid0(VALU_DEP_1) | instskip(NEXT) | instid1(VALU_DEP_1)
	v_mul_lo_u16 v7, v7, v10
	v_mul_lo_u16 v7, v7, v6
	s_delay_alu instid0(VALU_DEP_1) | instskip(SKIP_1) | instid1(VALU_DEP_2)
	v_mul_lo_u16 v25, v7, v9
	v_lshrrev_b32_e32 v7, 24, v6
	v_mul_lo_u16 v25, v25, v8
	s_delay_alu instid0(VALU_DEP_1) | instskip(SKIP_1) | instid1(VALU_DEP_2)
	v_mul_lo_u16 v26, v25, v7
	v_mbcnt_lo_u32_b32 v25, -1, 0
	v_and_b32_e32 v27, 0xff, v26
	s_delay_alu instid0(VALU_DEP_2) | instskip(NEXT) | instid1(VALU_DEP_2)
	v_and_b32_e32 v29, 15, v25
	v_mov_b32_dpp v28, v27 row_shr:1 row_mask:0xf bank_mask:0xf
	s_delay_alu instid0(VALU_DEP_2) | instskip(NEXT) | instid1(VALU_DEP_2)
	v_cmp_eq_u32_e64 s25, 0, v29
	v_mul_lo_u16 v28, v26, v28
	s_delay_alu instid0(VALU_DEP_1) | instskip(NEXT) | instid1(VALU_DEP_3)
	v_and_b32_e32 v30, 0xff, v28
	v_cndmask_b32_e64 v26, v28, v26, s25
	s_delay_alu instid0(VALU_DEP_2) | instskip(SKIP_1) | instid1(VALU_DEP_2)
	v_cndmask_b32_e64 v27, v30, v27, s25
	v_cmp_lt_u32_e64 s25, 1, v29
	v_mov_b32_dpp v28, v27 row_shr:2 row_mask:0xf bank_mask:0xf
	s_delay_alu instid0(VALU_DEP_1) | instskip(NEXT) | instid1(VALU_DEP_1)
	v_mul_lo_u16 v28, v26, v28
	v_and_b32_e32 v30, 0xff, v28
	s_delay_alu instid0(VALU_DEP_4) | instskip(NEXT) | instid1(VALU_DEP_2)
	v_cndmask_b32_e64 v26, v26, v28, s25
	v_cndmask_b32_e64 v27, v27, v30, s25
	v_cmp_lt_u32_e64 s25, 3, v29
	s_delay_alu instid0(VALU_DEP_2) | instskip(NEXT) | instid1(VALU_DEP_1)
	v_mov_b32_dpp v28, v27 row_shr:4 row_mask:0xf bank_mask:0xf
	v_mul_lo_u16 v28, v26, v28
	s_delay_alu instid0(VALU_DEP_1) | instskip(NEXT) | instid1(VALU_DEP_4)
	v_and_b32_e32 v30, 0xff, v28
	v_cndmask_b32_e64 v26, v26, v28, s25
	s_delay_alu instid0(VALU_DEP_2) | instskip(SKIP_2) | instid1(VALU_DEP_3)
	v_cndmask_b32_e64 v27, v27, v30, s25
	v_cmp_lt_u32_e64 s25, 7, v29
	v_and_b32_e32 v29, 16, v25
	v_mov_b32_dpp v28, v27 row_shr:8 row_mask:0xf bank_mask:0xf
	s_delay_alu instid0(VALU_DEP_1) | instskip(NEXT) | instid1(VALU_DEP_1)
	v_mul_lo_u16 v28, v26, v28
	v_and_b32_e32 v30, 0xff, v28
	v_cndmask_b32_e64 v26, v26, v28, s25
	v_lshrrev_b32_e32 v28, 5, v0
	s_delay_alu instid0(VALU_DEP_3)
	v_cndmask_b32_e64 v27, v27, v30, s25
	v_cmp_ne_u32_e64 s25, 0, v29
	v_or_b32_e32 v29, 31, v0
	ds_swizzle_b32 v27, v27 offset:swizzle(BROADCAST,32,15)
	s_waitcnt lgkmcnt(0)
	v_cndmask_b32_e64 v27, 1, v27, s25
	s_delay_alu instid0(VALU_DEP_1)
	v_mul_lo_u16 v27, v26, v27
	v_cmpx_eq_u32_e64 v29, v0
	s_cbranch_execz .LBB14_50
; %bb.49:
	ds_store_b8 v28, v27
.LBB14_50:
	s_or_b32 exec_lo, exec_lo, s26
	s_delay_alu instid0(SALU_CYCLE_1)
	s_mov_b32 s26, exec_lo
	s_waitcnt lgkmcnt(0)
	s_barrier
	buffer_gl0_inv
	v_cmpx_gt_u32_e32 8, v0
	s_cbranch_execz .LBB14_52
; %bb.51:
	ds_load_u8 v26, v0
	v_and_b32_e32 v31, 7, v25
	s_delay_alu instid0(VALU_DEP_1) | instskip(SKIP_2) | instid1(VALU_DEP_1)
	v_cmp_eq_u32_e64 s25, 0, v31
	s_waitcnt lgkmcnt(0)
	v_and_b32_e32 v29, 0xff, v26
	v_mov_b32_dpp v30, v29 row_shr:1 row_mask:0xf bank_mask:0xf
	s_delay_alu instid0(VALU_DEP_1) | instskip(NEXT) | instid1(VALU_DEP_1)
	v_mul_lo_u16 v30, v26, v30
	v_and_b32_e32 v32, 0xff, v30
	v_cndmask_b32_e64 v26, v30, v26, s25
	s_delay_alu instid0(VALU_DEP_2) | instskip(SKIP_1) | instid1(VALU_DEP_2)
	v_cndmask_b32_e64 v29, v32, v29, s25
	v_cmp_lt_u32_e64 s25, 1, v31
	v_mov_b32_dpp v30, v29 row_shr:2 row_mask:0xf bank_mask:0xf
	s_delay_alu instid0(VALU_DEP_1) | instskip(NEXT) | instid1(VALU_DEP_1)
	v_mul_lo_u16 v30, v26, v30
	v_and_b32_e32 v32, 0xff, v30
	s_delay_alu instid0(VALU_DEP_4) | instskip(NEXT) | instid1(VALU_DEP_2)
	v_cndmask_b32_e64 v26, v26, v30, s25
	v_cndmask_b32_e64 v29, v29, v32, s25
	v_cmp_lt_u32_e64 s25, 3, v31
	s_delay_alu instid0(VALU_DEP_2) | instskip(NEXT) | instid1(VALU_DEP_1)
	v_mov_b32_dpp v29, v29 row_shr:4 row_mask:0xf bank_mask:0xf
	v_cndmask_b32_e64 v29, 1, v29, s25
	s_delay_alu instid0(VALU_DEP_1)
	v_mul_lo_u16 v26, v26, v29
	ds_store_b8 v0, v26
.LBB14_52:
	s_or_b32 exec_lo, exec_lo, s26
	v_mul_u32_u24_e32 v26, 23, v0
	s_mov_b32 s26, exec_lo
	s_waitcnt lgkmcnt(0)
	s_barrier
	buffer_gl0_inv
                                        ; implicit-def: $vgpr29
	v_cmpx_lt_u32_e32 31, v0
	s_cbranch_execz .LBB14_54
; %bb.53:
	v_add_nc_u32_e32 v28, -1, v28
	ds_load_u8 v29, v28
	s_waitcnt lgkmcnt(0)
	v_mul_lo_u16 v27, v29, v27
.LBB14_54:
	s_or_b32 exec_lo, exec_lo, s26
	v_add_nc_u32_e32 v28, -1, v25
	s_delay_alu instid0(VALU_DEP_2) | instskip(SKIP_4) | instid1(VALU_DEP_1)
	v_and_b32_e32 v27, 0xff, v27
	s_barrier
	buffer_gl0_inv
	v_cmp_gt_i32_e64 s25, 0, v28
	s_load_b64 s[0:1], s[0:1], 0x18
	v_cndmask_b32_e64 v28, v28, v25, s25
	v_cmp_eq_u32_e64 s25, 0, v25
	s_delay_alu instid0(VALU_DEP_2) | instskip(SKIP_4) | instid1(VALU_DEP_1)
	v_lshlrev_b32_e32 v28, 2, v28
	ds_bpermute_b32 v27, v28, v27
	s_waitcnt lgkmcnt(0)
	v_cndmask_b32_e64 v25, v27, v29, s25
	v_cmp_ne_u32_e64 s25, 0, v0
	v_cndmask_b32_e64 v25, 1, v25, s25
	s_delay_alu instid0(VALU_DEP_1) | instskip(NEXT) | instid1(VALU_DEP_1)
	v_mul_lo_u16 v1, v25, v1
	v_mul_lo_u16 v14, v1, v14
	v_and_b32_e32 v1, 0xff, v1
	s_delay_alu instid0(VALU_DEP_2) | instskip(SKIP_1) | instid1(VALU_DEP_2)
	v_mul_lo_u16 v15, v14, v15
	v_lshlrev_b16 v14, 8, v14
	v_mul_lo_u16 v17, v15, v17
	v_and_b32_e32 v15, 0xff, v15
	s_delay_alu instid0(VALU_DEP_3) | instskip(NEXT) | instid1(VALU_DEP_3)
	v_or_b32_e32 v1, v1, v14
	v_mul_lo_u16 v2, v17, v2
	v_lshlrev_b16 v17, 8, v17
	s_delay_alu instid0(VALU_DEP_3) | instskip(NEXT) | instid1(VALU_DEP_3)
	v_and_b32_e32 v1, 0xffff, v1
	v_mul_lo_u16 v18, v2, v18
	s_delay_alu instid0(VALU_DEP_3) | instskip(SKIP_1) | instid1(VALU_DEP_3)
	v_or_b32_e32 v14, v15, v17
	v_and_b32_e32 v2, 0xff, v2
	v_mul_lo_u16 v19, v18, v19
	v_lshlrev_b16 v15, 8, v18
	s_delay_alu instid0(VALU_DEP_4) | instskip(SKIP_1) | instid1(VALU_DEP_4)
	v_lshlrev_b32_e32 v14, 16, v14
	v_add_nc_u32_e32 v18, v0, v26
	v_mul_lo_u16 v20, v19, v20
	s_delay_alu instid0(VALU_DEP_4) | instskip(SKIP_2) | instid1(VALU_DEP_4)
	v_or_b32_e32 v2, v2, v15
	v_and_b32_e32 v15, 0xff, v19
	v_or_b32_e32 v1, v1, v14
	v_mul_lo_u16 v3, v20, v3
	v_lshlrev_b16 v17, 8, v20
	v_and_b32_e32 v2, 0xffff, v2
	s_delay_alu instid0(VALU_DEP_3) | instskip(NEXT) | instid1(VALU_DEP_3)
	v_mul_lo_u16 v21, v3, v21
	v_or_b32_e32 v14, v15, v17
	v_and_b32_e32 v3, 0xff, v3
	s_delay_alu instid0(VALU_DEP_3) | instskip(SKIP_1) | instid1(VALU_DEP_4)
	v_mul_lo_u16 v22, v21, v22
	v_lshlrev_b16 v15, 8, v21
	v_lshlrev_b32_e32 v14, 16, v14
	s_delay_alu instid0(VALU_DEP_3) | instskip(SKIP_1) | instid1(VALU_DEP_4)
	v_mul_lo_u16 v23, v22, v23
	v_and_b32_e32 v17, 0xff, v22
	v_or_b32_e32 v3, v3, v15
	s_delay_alu instid0(VALU_DEP_4) | instskip(NEXT) | instid1(VALU_DEP_4)
	v_or_b32_e32 v2, v2, v14
	v_mul_lo_u16 v4, v23, v4
	v_lshlrev_b16 v19, 8, v23
	s_delay_alu instid0(VALU_DEP_4) | instskip(NEXT) | instid1(VALU_DEP_3)
	v_and_b32_e32 v3, 0xffff, v3
	v_mul_lo_u16 v24, v4, v24
	v_and_b32_e32 v4, 0xff, v4
	s_delay_alu instid0(VALU_DEP_4) | instskip(NEXT) | instid1(VALU_DEP_3)
	v_or_b32_e32 v15, v17, v19
	v_mul_lo_u16 v16, v24, v16
	v_lshlrev_b16 v20, 8, v24
	s_delay_alu instid0(VALU_DEP_3) | instskip(NEXT) | instid1(VALU_DEP_3)
	v_lshlrev_b32_e32 v15, 16, v15
	v_mul_lo_u16 v13, v16, v13
	v_and_b32_e32 v16, 0xff, v16
	s_delay_alu instid0(VALU_DEP_4) | instskip(NEXT) | instid1(VALU_DEP_4)
	v_or_b32_e32 v4, v4, v20
	v_or_b32_e32 v3, v3, v15
	s_delay_alu instid0(VALU_DEP_4) | instskip(SKIP_1) | instid1(VALU_DEP_4)
	v_mul_lo_u16 v5, v13, v5
	v_lshlrev_b16 v13, 8, v13
	v_and_b32_e32 v4, 0xffff, v4
	s_delay_alu instid0(VALU_DEP_3) | instskip(SKIP_1) | instid1(VALU_DEP_4)
	v_mul_lo_u16 v12, v5, v12
	v_and_b32_e32 v5, 0xff, v5
	v_or_b32_e32 v13, v16, v13
	s_delay_alu instid0(VALU_DEP_3) | instskip(SKIP_1) | instid1(VALU_DEP_2)
	v_mul_lo_u16 v11, v12, v11
	v_lshlrev_b16 v12, 8, v12
	v_mul_lo_u16 v10, v11, v10
	v_and_b32_e32 v11, 0xff, v11
	s_delay_alu instid0(VALU_DEP_3) | instskip(NEXT) | instid1(VALU_DEP_3)
	v_or_b32_e32 v5, v5, v12
	v_mul_lo_u16 v6, v10, v6
	v_lshlrev_b16 v10, 8, v10
	s_delay_alu instid0(VALU_DEP_3) | instskip(NEXT) | instid1(VALU_DEP_3)
	v_and_b32_e32 v5, 0xffff, v5
	v_mul_lo_u16 v9, v6, v9
	v_and_b32_e32 v6, 0xff, v6
	s_delay_alu instid0(VALU_DEP_4) | instskip(NEXT) | instid1(VALU_DEP_3)
	v_or_b32_e32 v10, v11, v10
	v_mul_lo_u16 v8, v9, v8
	v_lshlrev_b16 v9, 8, v9
	s_delay_alu instid0(VALU_DEP_2) | instskip(SKIP_1) | instid1(VALU_DEP_3)
	v_mul_lo_u16 v7, v8, v7
	v_and_b32_e32 v8, 0xff, v8
	v_or_b32_e32 v6, v6, v9
	v_lshlrev_b32_e32 v9, 16, v10
	s_delay_alu instid0(VALU_DEP_4) | instskip(NEXT) | instid1(VALU_DEP_3)
	v_lshlrev_b16 v7, 8, v7
	v_and_b32_e32 v6, 0xffff, v6
	s_delay_alu instid0(VALU_DEP_3) | instskip(NEXT) | instid1(VALU_DEP_3)
	v_or_b32_e32 v5, v5, v9
	v_or_b32_e32 v7, v8, v7
	v_lshlrev_b32_e32 v8, 16, v13
	s_delay_alu instid0(VALU_DEP_2) | instskip(NEXT) | instid1(VALU_DEP_2)
	v_lshlrev_b32_e32 v7, 16, v7
	v_or_b32_e32 v4, v4, v8
	s_delay_alu instid0(VALU_DEP_2)
	v_or_b32_e32 v6, v6, v7
	ds_store_2addr_b64 v18, v[1:2], v[3:4] offset1:1
	ds_store_b64 v18, v[5:6] offset:16
	s_waitcnt lgkmcnt(0)
	s_barrier
	buffer_gl0_inv
	ds_load_u8 v25, v0 offset:256
	ds_load_u8 v24, v0 offset:512
	;; [unrolled: 1-line block ×23, first 2 shown]
	v_add_co_u32 v1, s0, s0, v0
	s_delay_alu instid0(VALU_DEP_1)
	v_add_co_ci_u32_e64 v2, null, s1, 0, s0
	s_and_saveexec_b32 s0, vcc_lo
	s_cbranch_execnz .LBB14_79
; %bb.55:
	s_or_b32 exec_lo, exec_lo, s0
	s_and_saveexec_b32 s0, s2
	s_cbranch_execnz .LBB14_80
.LBB14_56:
	s_or_b32 exec_lo, exec_lo, s0
	s_and_saveexec_b32 s0, s3
	s_cbranch_execnz .LBB14_81
.LBB14_57:
	s_or_b32 exec_lo, exec_lo, s0
	s_and_saveexec_b32 s0, s4
	s_cbranch_execnz .LBB14_82
.LBB14_58:
	s_or_b32 exec_lo, exec_lo, s0
	s_and_saveexec_b32 s0, s5
	s_cbranch_execnz .LBB14_83
.LBB14_59:
	s_or_b32 exec_lo, exec_lo, s0
	s_and_saveexec_b32 s0, s6
	s_cbranch_execnz .LBB14_84
.LBB14_60:
	s_or_b32 exec_lo, exec_lo, s0
	s_and_saveexec_b32 s0, s7
	s_cbranch_execnz .LBB14_85
.LBB14_61:
	s_or_b32 exec_lo, exec_lo, s0
	s_and_saveexec_b32 s0, s8
	s_cbranch_execnz .LBB14_86
.LBB14_62:
	s_or_b32 exec_lo, exec_lo, s0
	s_and_saveexec_b32 s0, s9
	s_cbranch_execnz .LBB14_87
.LBB14_63:
	s_or_b32 exec_lo, exec_lo, s0
	s_and_saveexec_b32 s0, s10
	s_cbranch_execnz .LBB14_88
.LBB14_64:
	s_or_b32 exec_lo, exec_lo, s0
	s_and_saveexec_b32 s0, s11
	s_cbranch_execnz .LBB14_89
.LBB14_65:
	s_or_b32 exec_lo, exec_lo, s0
	s_and_saveexec_b32 s0, s12
	s_cbranch_execnz .LBB14_90
.LBB14_66:
	s_or_b32 exec_lo, exec_lo, s0
	s_and_saveexec_b32 s0, s13
	s_cbranch_execnz .LBB14_91
.LBB14_67:
	s_or_b32 exec_lo, exec_lo, s0
	s_and_saveexec_b32 s0, s14
	s_cbranch_execnz .LBB14_92
.LBB14_68:
	s_or_b32 exec_lo, exec_lo, s0
	s_and_saveexec_b32 s0, s15
	s_cbranch_execnz .LBB14_93
.LBB14_69:
	s_or_b32 exec_lo, exec_lo, s0
	s_and_saveexec_b32 s0, s16
	s_cbranch_execnz .LBB14_94
.LBB14_70:
	s_or_b32 exec_lo, exec_lo, s0
	s_and_saveexec_b32 s0, s17
	s_cbranch_execnz .LBB14_95
.LBB14_71:
	s_or_b32 exec_lo, exec_lo, s0
	s_and_saveexec_b32 s0, s18
	s_cbranch_execnz .LBB14_96
.LBB14_72:
	s_or_b32 exec_lo, exec_lo, s0
	s_and_saveexec_b32 s0, s19
	s_cbranch_execnz .LBB14_97
.LBB14_73:
	s_or_b32 exec_lo, exec_lo, s0
	s_and_saveexec_b32 s0, s20
	s_cbranch_execnz .LBB14_98
.LBB14_74:
	s_or_b32 exec_lo, exec_lo, s0
	s_and_saveexec_b32 s0, s21
	s_cbranch_execnz .LBB14_99
.LBB14_75:
	s_or_b32 exec_lo, exec_lo, s0
	s_and_saveexec_b32 s0, s22
	s_cbranch_execnz .LBB14_100
.LBB14_76:
	s_or_b32 exec_lo, exec_lo, s0
	s_and_saveexec_b32 s0, s23
	s_cbranch_execnz .LBB14_101
.LBB14_77:
	s_or_b32 exec_lo, exec_lo, s0
	s_and_saveexec_b32 s0, s24
	s_cbranch_execnz .LBB14_102
.LBB14_78:
	s_nop 0
	s_sendmsg sendmsg(MSG_DEALLOC_VGPRS)
	s_endpgm
.LBB14_79:
	ds_load_u8 v0, v0
	s_waitcnt lgkmcnt(0)
	global_store_b8 v[1:2], v0, off
	s_or_b32 exec_lo, exec_lo, s0
	s_and_saveexec_b32 s0, s2
	s_cbranch_execz .LBB14_56
.LBB14_80:
	s_waitcnt lgkmcnt(22)
	global_store_b8 v[1:2], v25, off offset:256
	s_or_b32 exec_lo, exec_lo, s0
	s_and_saveexec_b32 s0, s3
	s_cbranch_execz .LBB14_57
.LBB14_81:
	s_waitcnt lgkmcnt(21)
	global_store_b8 v[1:2], v24, off offset:512
	s_or_b32 exec_lo, exec_lo, s0
	s_and_saveexec_b32 s0, s4
	s_cbranch_execz .LBB14_58
.LBB14_82:
	s_waitcnt lgkmcnt(20)
	global_store_b8 v[1:2], v23, off offset:768
	s_or_b32 exec_lo, exec_lo, s0
	s_and_saveexec_b32 s0, s5
	s_cbranch_execz .LBB14_59
.LBB14_83:
	s_waitcnt lgkmcnt(19)
	global_store_b8 v[1:2], v22, off offset:1024
	s_or_b32 exec_lo, exec_lo, s0
	s_and_saveexec_b32 s0, s6
	s_cbranch_execz .LBB14_60
.LBB14_84:
	s_waitcnt lgkmcnt(18)
	global_store_b8 v[1:2], v21, off offset:1280
	s_or_b32 exec_lo, exec_lo, s0
	s_and_saveexec_b32 s0, s7
	s_cbranch_execz .LBB14_61
.LBB14_85:
	s_waitcnt lgkmcnt(17)
	global_store_b8 v[1:2], v20, off offset:1536
	s_or_b32 exec_lo, exec_lo, s0
	s_and_saveexec_b32 s0, s8
	s_cbranch_execz .LBB14_62
.LBB14_86:
	s_waitcnt lgkmcnt(16)
	global_store_b8 v[1:2], v19, off offset:1792
	s_or_b32 exec_lo, exec_lo, s0
	s_and_saveexec_b32 s0, s9
	s_cbranch_execz .LBB14_63
.LBB14_87:
	s_waitcnt lgkmcnt(15)
	global_store_b8 v[1:2], v18, off offset:2048
	s_or_b32 exec_lo, exec_lo, s0
	s_and_saveexec_b32 s0, s10
	s_cbranch_execz .LBB14_64
.LBB14_88:
	s_waitcnt lgkmcnt(14)
	global_store_b8 v[1:2], v17, off offset:2304
	s_or_b32 exec_lo, exec_lo, s0
	s_and_saveexec_b32 s0, s11
	s_cbranch_execz .LBB14_65
.LBB14_89:
	s_waitcnt lgkmcnt(13)
	global_store_b8 v[1:2], v16, off offset:2560
	s_or_b32 exec_lo, exec_lo, s0
	s_and_saveexec_b32 s0, s12
	s_cbranch_execz .LBB14_66
.LBB14_90:
	s_waitcnt lgkmcnt(12)
	global_store_b8 v[1:2], v15, off offset:2816
	s_or_b32 exec_lo, exec_lo, s0
	s_and_saveexec_b32 s0, s13
	s_cbranch_execz .LBB14_67
.LBB14_91:
	s_waitcnt lgkmcnt(11)
	global_store_b8 v[1:2], v14, off offset:3072
	s_or_b32 exec_lo, exec_lo, s0
	s_and_saveexec_b32 s0, s14
	s_cbranch_execz .LBB14_68
.LBB14_92:
	s_waitcnt lgkmcnt(10)
	global_store_b8 v[1:2], v13, off offset:3328
	s_or_b32 exec_lo, exec_lo, s0
	s_and_saveexec_b32 s0, s15
	s_cbranch_execz .LBB14_69
.LBB14_93:
	s_waitcnt lgkmcnt(9)
	global_store_b8 v[1:2], v12, off offset:3584
	s_or_b32 exec_lo, exec_lo, s0
	s_and_saveexec_b32 s0, s16
	s_cbranch_execz .LBB14_70
.LBB14_94:
	s_waitcnt lgkmcnt(8)
	global_store_b8 v[1:2], v11, off offset:3840
	s_or_b32 exec_lo, exec_lo, s0
	s_and_saveexec_b32 s0, s17
	s_cbranch_execz .LBB14_71
.LBB14_95:
	s_waitcnt lgkmcnt(8)
	v_add_co_u32 v11, vcc_lo, 0x1000, v1
	v_add_co_ci_u32_e32 v12, vcc_lo, 0, v2, vcc_lo
	s_waitcnt lgkmcnt(7)
	global_store_b8 v[11:12], v10, off
	s_or_b32 exec_lo, exec_lo, s0
	s_and_saveexec_b32 s0, s18
	s_cbranch_execz .LBB14_72
.LBB14_96:
	s_waitcnt lgkmcnt(7)
	v_add_co_u32 v10, vcc_lo, 0x1000, v1
	v_add_co_ci_u32_e32 v11, vcc_lo, 0, v2, vcc_lo
	s_waitcnt lgkmcnt(6)
	global_store_b8 v[10:11], v9, off offset:256
	s_or_b32 exec_lo, exec_lo, s0
	s_and_saveexec_b32 s0, s19
	s_cbranch_execz .LBB14_73
.LBB14_97:
	s_waitcnt lgkmcnt(6)
	v_add_co_u32 v9, vcc_lo, 0x1000, v1
	v_add_co_ci_u32_e32 v10, vcc_lo, 0, v2, vcc_lo
	s_waitcnt lgkmcnt(5)
	global_store_b8 v[9:10], v8, off offset:512
	s_or_b32 exec_lo, exec_lo, s0
	s_and_saveexec_b32 s0, s20
	s_cbranch_execz .LBB14_74
.LBB14_98:
	s_waitcnt lgkmcnt(5)
	v_add_co_u32 v8, vcc_lo, 0x1000, v1
	v_add_co_ci_u32_e32 v9, vcc_lo, 0, v2, vcc_lo
	s_waitcnt lgkmcnt(4)
	global_store_b8 v[8:9], v7, off offset:768
	s_or_b32 exec_lo, exec_lo, s0
	s_and_saveexec_b32 s0, s21
	s_cbranch_execz .LBB14_75
.LBB14_99:
	s_waitcnt lgkmcnt(4)
	v_add_co_u32 v7, vcc_lo, 0x1000, v1
	v_add_co_ci_u32_e32 v8, vcc_lo, 0, v2, vcc_lo
	s_waitcnt lgkmcnt(3)
	global_store_b8 v[7:8], v6, off offset:1024
	s_or_b32 exec_lo, exec_lo, s0
	s_and_saveexec_b32 s0, s22
	s_cbranch_execz .LBB14_76
.LBB14_100:
	s_waitcnt lgkmcnt(3)
	v_add_co_u32 v6, vcc_lo, 0x1000, v1
	v_add_co_ci_u32_e32 v7, vcc_lo, 0, v2, vcc_lo
	s_waitcnt lgkmcnt(2)
	global_store_b8 v[6:7], v5, off offset:1280
	s_or_b32 exec_lo, exec_lo, s0
	s_and_saveexec_b32 s0, s23
	s_cbranch_execz .LBB14_77
.LBB14_101:
	s_waitcnt lgkmcnt(2)
	v_add_co_u32 v5, vcc_lo, 0x1000, v1
	v_add_co_ci_u32_e32 v6, vcc_lo, 0, v2, vcc_lo
	s_waitcnt lgkmcnt(1)
	global_store_b8 v[5:6], v4, off offset:1536
	s_or_b32 exec_lo, exec_lo, s0
	s_and_saveexec_b32 s0, s24
	s_cbranch_execz .LBB14_78
.LBB14_102:
	v_add_co_u32 v0, vcc_lo, 0x1000, v1
	v_add_co_ci_u32_e32 v1, vcc_lo, 0, v2, vcc_lo
	s_waitcnt lgkmcnt(0)
	global_store_b8 v[0:1], v3, off offset:1792
	s_nop 0
	s_sendmsg sendmsg(MSG_DEALLOC_VGPRS)
	s_endpgm
	.section	.rodata,"a",@progbits
	.p2align	6, 0x0
	.amdhsa_kernel _ZN7rocprim17ROCPRIM_304000_NS6detail18single_scan_kernelILb0ENS1_19wrapped_scan_configINS0_14default_configEaEEPKaPaSt10multipliesIaEaaEEvT1_mT4_T2_T3_
		.amdhsa_group_segment_fixed_size 6144
		.amdhsa_private_segment_fixed_size 0
		.amdhsa_kernarg_size 36
		.amdhsa_user_sgpr_count 15
		.amdhsa_user_sgpr_dispatch_ptr 0
		.amdhsa_user_sgpr_queue_ptr 0
		.amdhsa_user_sgpr_kernarg_segment_ptr 1
		.amdhsa_user_sgpr_dispatch_id 0
		.amdhsa_user_sgpr_private_segment_size 0
		.amdhsa_wavefront_size32 1
		.amdhsa_uses_dynamic_stack 0
		.amdhsa_enable_private_segment 0
		.amdhsa_system_sgpr_workgroup_id_x 1
		.amdhsa_system_sgpr_workgroup_id_y 0
		.amdhsa_system_sgpr_workgroup_id_z 0
		.amdhsa_system_sgpr_workgroup_info 0
		.amdhsa_system_vgpr_workitem_id 0
		.amdhsa_next_free_vgpr 33
		.amdhsa_next_free_sgpr 28
		.amdhsa_reserve_vcc 1
		.amdhsa_float_round_mode_32 0
		.amdhsa_float_round_mode_16_64 0
		.amdhsa_float_denorm_mode_32 3
		.amdhsa_float_denorm_mode_16_64 3
		.amdhsa_dx10_clamp 1
		.amdhsa_ieee_mode 1
		.amdhsa_fp16_overflow 0
		.amdhsa_workgroup_processor_mode 1
		.amdhsa_memory_ordered 1
		.amdhsa_forward_progress 0
		.amdhsa_shared_vgpr_count 0
		.amdhsa_exception_fp_ieee_invalid_op 0
		.amdhsa_exception_fp_denorm_src 0
		.amdhsa_exception_fp_ieee_div_zero 0
		.amdhsa_exception_fp_ieee_overflow 0
		.amdhsa_exception_fp_ieee_underflow 0
		.amdhsa_exception_fp_ieee_inexact 0
		.amdhsa_exception_int_div_zero 0
	.end_amdhsa_kernel
	.section	.text._ZN7rocprim17ROCPRIM_304000_NS6detail18single_scan_kernelILb0ENS1_19wrapped_scan_configINS0_14default_configEaEEPKaPaSt10multipliesIaEaaEEvT1_mT4_T2_T3_,"axG",@progbits,_ZN7rocprim17ROCPRIM_304000_NS6detail18single_scan_kernelILb0ENS1_19wrapped_scan_configINS0_14default_configEaEEPKaPaSt10multipliesIaEaaEEvT1_mT4_T2_T3_,comdat
.Lfunc_end14:
	.size	_ZN7rocprim17ROCPRIM_304000_NS6detail18single_scan_kernelILb0ENS1_19wrapped_scan_configINS0_14default_configEaEEPKaPaSt10multipliesIaEaaEEvT1_mT4_T2_T3_, .Lfunc_end14-_ZN7rocprim17ROCPRIM_304000_NS6detail18single_scan_kernelILb0ENS1_19wrapped_scan_configINS0_14default_configEaEEPKaPaSt10multipliesIaEaaEEvT1_mT4_T2_T3_
                                        ; -- End function
	.section	.AMDGPU.csdata,"",@progbits
; Kernel info:
; codeLenInByte = 4456
; NumSgprs: 30
; NumVgprs: 33
; ScratchSize: 0
; MemoryBound: 0
; FloatMode: 240
; IeeeMode: 1
; LDSByteSize: 6144 bytes/workgroup (compile time only)
; SGPRBlocks: 3
; VGPRBlocks: 4
; NumSGPRsForWavesPerEU: 30
; NumVGPRsForWavesPerEU: 33
; Occupancy: 16
; WaveLimiterHint : 0
; COMPUTE_PGM_RSRC2:SCRATCH_EN: 0
; COMPUTE_PGM_RSRC2:USER_SGPR: 15
; COMPUTE_PGM_RSRC2:TRAP_HANDLER: 0
; COMPUTE_PGM_RSRC2:TGID_X_EN: 1
; COMPUTE_PGM_RSRC2:TGID_Y_EN: 0
; COMPUTE_PGM_RSRC2:TGID_Z_EN: 0
; COMPUTE_PGM_RSRC2:TIDIG_COMP_CNT: 0
	.section	.text._ZN2at6native32tensor_kernel_scan_innermost_dimIaSt10multipliesIaEEEvPT_PKS4_jjjS4_T0_,"axG",@progbits,_ZN2at6native32tensor_kernel_scan_innermost_dimIaSt10multipliesIaEEEvPT_PKS4_jjjS4_T0_,comdat
	.protected	_ZN2at6native32tensor_kernel_scan_innermost_dimIaSt10multipliesIaEEEvPT_PKS4_jjjS4_T0_ ; -- Begin function _ZN2at6native32tensor_kernel_scan_innermost_dimIaSt10multipliesIaEEEvPT_PKS4_jjjS4_T0_
	.globl	_ZN2at6native32tensor_kernel_scan_innermost_dimIaSt10multipliesIaEEEvPT_PKS4_jjjS4_T0_
	.p2align	8
	.type	_ZN2at6native32tensor_kernel_scan_innermost_dimIaSt10multipliesIaEEEvPT_PKS4_jjjS4_T0_,@function
_ZN2at6native32tensor_kernel_scan_innermost_dimIaSt10multipliesIaEEEvPT_PKS4_jjjS4_T0_: ; @_ZN2at6native32tensor_kernel_scan_innermost_dimIaSt10multipliesIaEEEvPT_PKS4_jjjS4_T0_
; %bb.0:
	s_load_b256 s[16:23], s[0:1], 0x0
	v_bfe_u32 v15, v0, 10, 10
	s_mov_b32 s2, 0
	s_waitcnt lgkmcnt(0)
	s_lshl_b32 s5, 2, s22
	s_mov_b32 s6, s20
	v_mad_u64_u32 v[1:2], null, s5, v15, s[2:3]
	s_mul_hi_u32 s2, s20, s21
	s_delay_alu instid0(SALU_CYCLE_1)
	s_cmp_lg_u32 s2, 0
	s_mov_b32 s2, -1
	s_cbranch_scc1 .LBB15_26
; %bb.1:
	s_load_b32 s4, s[0:1], 0x2c
	s_add_u32 s2, s0, 32
	s_addc_u32 s3, s1, 0
	s_waitcnt lgkmcnt(0)
	s_lshr_b32 s4, s4, 16
	s_delay_alu instid0(SALU_CYCLE_1) | instskip(NEXT) | instid1(SALU_CYCLE_1)
	s_mul_i32 s7, s15, s4
	s_cmp_ge_u32 s7, s20
	s_cbranch_scc1 .LBB15_25
; %bb.2:
	s_load_b32 s9, s[2:3], 0x0
	v_and_b32_e32 v2, 0x3ff, v0
	v_add_nc_u32_e32 v3, -1, v1
	s_cmp_lg_u32 s21, 0
	s_cselect_b32 s8, -1, 0
	s_delay_alu instid0(VALU_DEP_2)
	v_lshl_add_u32 v4, 1, s22, v2
	v_cmp_eq_u32_e64 s2, 0, v2
	v_add_nc_u32_e32 v5, s5, v3
	v_add_nc_u32_e32 v6, v1, v2
	s_add_i32 s10, s22, 1
	v_add_nc_u32_e32 v7, v1, v4
	s_waitcnt lgkmcnt(0)
	s_mul_i32 s9, s9, s4
	s_branch .LBB15_4
.LBB15_3:                               ;   in Loop: Header=BB15_4 Depth=1
	s_add_i32 s7, s7, s9
	s_delay_alu instid0(SALU_CYCLE_1)
	s_cmp_ge_u32 s7, s20
	s_cbranch_scc1 .LBB15_25
.LBB15_4:                               ; =>This Loop Header: Depth=1
                                        ;     Child Loop BB15_7 Depth 2
                                        ;       Child Loop BB15_16 Depth 3
	s_and_not1_b32 vcc_lo, exec_lo, s8
	s_cbranch_vccnz .LBB15_3
; %bb.5:                                ;   in Loop: Header=BB15_4 Depth=1
	v_add_nc_u32_e32 v8, s7, v15
	v_mov_b32_e32 v14, s23
	s_mov_b32 s11, 0
	s_delay_alu instid0(VALU_DEP_2) | instskip(SKIP_2) | instid1(VALU_DEP_3)
	v_mul_lo_u32 v10, v8, s21
	v_cmp_gt_u32_e32 vcc_lo, s20, v8
	v_cmp_le_u32_e64 s3, s20, v8
	v_add_co_u32 v8, s4, s18, v10
	s_delay_alu instid0(VALU_DEP_1) | instskip(SKIP_1) | instid1(VALU_DEP_1)
	v_add_co_ci_u32_e64 v9, null, s19, 0, s4
	v_add_co_u32 v10, s4, s16, v10
	v_add_co_ci_u32_e64 v11, null, s17, 0, s4
	s_branch .LBB15_7
.LBB15_6:                               ;   in Loop: Header=BB15_7 Depth=2
	s_or_b32 exec_lo, exec_lo, s12
	ds_load_u8 v14, v5
	s_add_i32 s11, s11, s5
	s_waitcnt lgkmcnt(0)
	s_waitcnt_vscnt null, 0x0
	s_cmp_ge_u32 s11, s21
	s_barrier
	buffer_gl0_inv
	s_cbranch_scc1 .LBB15_3
.LBB15_7:                               ;   Parent Loop BB15_4 Depth=1
                                        ; =>  This Loop Header: Depth=2
                                        ;       Child Loop BB15_16 Depth 3
	v_add_nc_u32_e32 v13, s11, v2
	v_add_nc_u32_e32 v12, s11, v4
	s_and_saveexec_b32 s12, vcc_lo
	s_cbranch_execz .LBB15_14
; %bb.8:                                ;   in Loop: Header=BB15_7 Depth=2
	v_mov_b32_e32 v16, s23
	s_mov_b32 s13, exec_lo
	v_cmpx_gt_u32_e64 s21, v13
	s_cbranch_execz .LBB15_10
; %bb.9:                                ;   in Loop: Header=BB15_7 Depth=2
	v_add_co_u32 v16, s4, v8, v13
	s_delay_alu instid0(VALU_DEP_1)
	v_add_co_ci_u32_e64 v17, s4, 0, v9, s4
	global_load_u8 v16, v[16:17], off
.LBB15_10:                              ;   in Loop: Header=BB15_7 Depth=2
	s_or_b32 exec_lo, exec_lo, s13
	v_mov_b32_e32 v17, s23
	s_mov_b32 s13, exec_lo
	s_waitcnt vmcnt(0)
	ds_store_b8 v6, v16
	v_cmpx_gt_u32_e64 s21, v12
	s_cbranch_execz .LBB15_12
; %bb.11:                               ;   in Loop: Header=BB15_7 Depth=2
	v_add_co_u32 v16, s4, v8, v12
	s_delay_alu instid0(VALU_DEP_1)
	v_add_co_ci_u32_e64 v17, s4, 0, v9, s4
	global_load_u8 v17, v[16:17], off
.LBB15_12:                              ;   in Loop: Header=BB15_7 Depth=2
	s_or_b32 exec_lo, exec_lo, s13
	s_waitcnt vmcnt(0)
	ds_store_b8 v7, v17
	s_and_b32 exec_lo, exec_lo, s2
	s_cbranch_execz .LBB15_14
; %bb.13:                               ;   in Loop: Header=BB15_7 Depth=2
	ds_load_u8 v16, v1
	s_waitcnt lgkmcnt(0)
	v_mul_lo_u16 v14, v16, v14
	ds_store_b8 v1, v14
.LBB15_14:                              ;   in Loop: Header=BB15_7 Depth=2
	s_or_b32 exec_lo, exec_lo, s12
	v_mov_b32_e32 v14, 0
	s_mov_b32 s12, 0
	s_waitcnt lgkmcnt(0)
	s_barrier
	buffer_gl0_inv
	s_set_inst_prefetch_distance 0x1
	s_branch .LBB15_16
	.p2align	6
.LBB15_15:                              ;   in Loop: Header=BB15_16 Depth=3
	s_or_b32 exec_lo, exec_lo, s4
	s_delay_alu instid0(VALU_DEP_1) | instskip(SKIP_4) | instid1(SALU_CYCLE_1)
	v_cmp_eq_u32_e64 s4, s10, v14
	s_waitcnt lgkmcnt(0)
	s_barrier
	buffer_gl0_inv
	s_or_b32 s12, s4, s12
	s_and_not1_b32 exec_lo, exec_lo, s12
	s_cbranch_execz .LBB15_20
.LBB15_16:                              ;   Parent Loop BB15_4 Depth=1
                                        ;     Parent Loop BB15_7 Depth=2
                                        ; =>    This Inner Loop Header: Depth=3
	v_add_nc_u32_e32 v16, 1, v14
	s_and_saveexec_b32 s4, s3
	s_delay_alu instid0(SALU_CYCLE_1)
	s_xor_b32 s4, exec_lo, s4
; %bb.17:                               ;   in Loop: Header=BB15_16 Depth=3
	v_add_nc_u32_e32 v14, 1, v14
                                        ; implicit-def: $vgpr16
; %bb.18:                               ;   in Loop: Header=BB15_16 Depth=3
	s_and_not1_saveexec_b32 s4, s4
	s_cbranch_execz .LBB15_15
; %bb.19:                               ;   in Loop: Header=BB15_16 Depth=3
	s_delay_alu instid0(VALU_DEP_1) | instskip(SKIP_2) | instid1(VALU_DEP_2)
	v_lshlrev_b32_e64 v17, v14, 1
	v_lshrrev_b32_e32 v18, v14, v2
	v_bfm_b32 v14, v14, 0
	v_lshl_or_b32 v17, v18, v16, v17
	s_delay_alu instid0(VALU_DEP_2) | instskip(NEXT) | instid1(VALU_DEP_1)
	v_and_b32_e32 v14, v14, v2
	v_add3_u32 v18, v1, v17, v14
	v_add_nc_u32_e32 v14, v3, v17
	ds_load_u8 v17, v18
	ds_load_u8 v14, v14
	s_waitcnt lgkmcnt(0)
	v_mul_lo_u16 v17, v14, v17
	v_mov_b32_e32 v14, v16
	ds_store_b8 v18, v17
	s_branch .LBB15_15
.LBB15_20:                              ;   in Loop: Header=BB15_7 Depth=2
	s_set_inst_prefetch_distance 0x2
	s_or_b32 exec_lo, exec_lo, s12
	s_and_saveexec_b32 s12, vcc_lo
	s_cbranch_execz .LBB15_6
; %bb.21:                               ;   in Loop: Header=BB15_7 Depth=2
	s_mov_b32 s13, exec_lo
	v_cmpx_gt_u32_e64 s21, v13
	s_cbranch_execz .LBB15_23
; %bb.22:                               ;   in Loop: Header=BB15_7 Depth=2
	ds_load_u8 v16, v6
	v_add_co_u32 v13, s4, v10, v13
	s_delay_alu instid0(VALU_DEP_1)
	v_add_co_ci_u32_e64 v14, s4, 0, v11, s4
	s_waitcnt lgkmcnt(0)
	global_store_b8 v[13:14], v16, off
.LBB15_23:                              ;   in Loop: Header=BB15_7 Depth=2
	s_or_b32 exec_lo, exec_lo, s13
	v_cmp_gt_u32_e64 s4, s21, v12
	s_delay_alu instid0(VALU_DEP_1)
	s_and_b32 exec_lo, exec_lo, s4
	s_cbranch_execz .LBB15_6
; %bb.24:                               ;   in Loop: Header=BB15_7 Depth=2
	ds_load_u8 v14, v7
	v_add_co_u32 v12, s4, v10, v12
	s_delay_alu instid0(VALU_DEP_1)
	v_add_co_ci_u32_e64 v13, s4, 0, v11, s4
	s_waitcnt lgkmcnt(0)
	global_store_b8 v[12:13], v14, off
	s_branch .LBB15_6
.LBB15_25:
	s_mov_b32 s2, 0
.LBB15_26:
	s_delay_alu instid0(SALU_CYCLE_1)
	s_and_not1_b32 vcc_lo, exec_lo, s2
	s_cbranch_vccnz .LBB15_53
; %bb.27:
	s_load_b32 s2, s[0:1], 0x2c
	s_add_u32 s0, s0, 32
	s_addc_u32 s1, s1, 0
	s_mov_b32 s7, 0
	s_waitcnt lgkmcnt(0)
	s_lshr_b32 s2, s2, 16
	s_delay_alu instid0(SALU_CYCLE_1) | instskip(SKIP_1) | instid1(SALU_CYCLE_1)
	s_mul_hi_u32 s5, s2, s15
	s_mul_i32 s4, s2, s15
	v_cmp_ge_u64_e64 s3, s[4:5], s[6:7]
	s_delay_alu instid0(VALU_DEP_1)
	s_and_b32 vcc_lo, exec_lo, s3
	s_cbranch_vccnz .LBB15_53
; %bb.28:
	s_load_b32 s1, s[0:1], 0x0
	s_lshl_b32 s8, 1, s22
	s_and_b32 s2, 0xffff, s2
	v_dual_mov_b32 v3, 0 :: v_dual_and_b32 v2, 0x3ff, v0
	v_add_nc_u32_e32 v4, -1, v1
	s_ashr_i32 s9, s8, 31
	v_add_nc_u32_e32 v5, s8, v1
	s_cmp_lg_u32 s21, 0
	v_cmp_eq_u32_e64 s0, 0, v2
	s_cselect_b32 s3, -1, 0
	s_lshl_b64 s[12:13], s[8:9], 1
	v_add_nc_u32_e32 v0, v1, v2
	v_add_nc_u32_e32 v16, s12, v4
	;; [unrolled: 1-line block ×3, first 2 shown]
	s_mov_b32 s10, s21
	s_mov_b32 s11, s7
	s_add_i32 s21, s22, 1
	s_waitcnt lgkmcnt(0)
	s_mul_i32 s20, s1, s2
	s_branch .LBB15_30
.LBB15_29:                              ;   in Loop: Header=BB15_30 Depth=1
	s_add_u32 s4, s4, s20
	s_addc_u32 s5, s5, 0
	s_delay_alu instid0(SALU_CYCLE_1) | instskip(NEXT) | instid1(VALU_DEP_1)
	v_cmp_ge_u64_e64 s1, s[4:5], s[6:7]
	s_and_b32 vcc_lo, exec_lo, s1
	s_cbranch_vccnz .LBB15_53
.LBB15_30:                              ; =>This Loop Header: Depth=1
                                        ;     Child Loop BB15_33 Depth 2
                                        ;       Child Loop BB15_43 Depth 3
	s_and_not1_b32 vcc_lo, exec_lo, s3
	s_cbranch_vccnz .LBB15_29
; %bb.31:                               ;   in Loop: Header=BB15_30 Depth=1
	v_add_co_u32 v8, s1, s4, v15
	s_delay_alu instid0(VALU_DEP_1) | instskip(SKIP_1) | instid1(VALU_DEP_2)
	v_add_co_ci_u32_e64 v9, null, s5, 0, s1
	s_mov_b64 s[14:15], 0
	v_mad_u64_u32 v[4:5], null, v8, s10, s[18:19]
	s_delay_alu instid0(VALU_DEP_2) | instskip(SKIP_3) | instid1(VALU_DEP_4)
	v_mul_lo_u32 v10, v9, s10
	v_mad_u64_u32 v[6:7], null, v8, s10, s[16:17]
	v_cmp_gt_u64_e64 s1, s[6:7], v[8:9]
	v_cmp_le_u64_e64 s2, s[6:7], v[8:9]
	v_dual_mov_b32 v12, s23 :: v_dual_add_nc_u32 v5, v10, v5
	s_delay_alu instid0(VALU_DEP_4)
	v_add_nc_u32_e32 v7, v10, v7
	s_branch .LBB15_33
.LBB15_32:                              ;   in Loop: Header=BB15_33 Depth=2
	s_or_b32 exec_lo, exec_lo, s22
	ds_load_u8 v12, v16
	s_add_u32 s14, s14, s12
	s_addc_u32 s15, s15, s13
	s_waitcnt lgkmcnt(0)
	s_waitcnt_vscnt null, 0x0
	v_cmp_ge_u64_e64 s22, s[14:15], s[10:11]
	s_barrier
	buffer_gl0_inv
	s_and_b32 vcc_lo, exec_lo, s22
	s_cbranch_vccnz .LBB15_29
.LBB15_33:                              ;   Parent Loop BB15_30 Depth=1
                                        ; =>  This Loop Header: Depth=2
                                        ;       Child Loop BB15_43 Depth 3
	v_add_co_u32 v10, s22, s14, v2
	s_delay_alu instid0(VALU_DEP_1) | instskip(NEXT) | instid1(VALU_DEP_2)
	v_add_co_ci_u32_e64 v11, null, s15, 0, s22
	v_add_co_u32 v8, vcc_lo, v10, s8
	s_delay_alu instid0(VALU_DEP_2)
	v_add_co_ci_u32_e32 v9, vcc_lo, s9, v11, vcc_lo
	s_and_saveexec_b32 s22, s1
	s_cbranch_execz .LBB15_40
; %bb.34:                               ;   in Loop: Header=BB15_33 Depth=2
	v_mov_b32_e32 v13, s23
	s_mov_b32 s24, exec_lo
	v_cmpx_gt_u64_e64 s[10:11], v[10:11]
	s_cbranch_execz .LBB15_36
; %bb.35:                               ;   in Loop: Header=BB15_33 Depth=2
	v_add_co_u32 v13, vcc_lo, v4, v10
	v_add_co_ci_u32_e32 v14, vcc_lo, v5, v11, vcc_lo
	global_load_u8 v13, v[13:14], off
.LBB15_36:                              ;   in Loop: Header=BB15_33 Depth=2
	s_or_b32 exec_lo, exec_lo, s24
	v_mov_b32_e32 v14, s23
	s_mov_b32 s24, exec_lo
	s_waitcnt vmcnt(0)
	ds_store_b8 v0, v13
	v_cmpx_gt_u64_e64 s[10:11], v[8:9]
	s_cbranch_execz .LBB15_38
; %bb.37:                               ;   in Loop: Header=BB15_33 Depth=2
	v_add_co_u32 v13, vcc_lo, v4, v8
	v_add_co_ci_u32_e32 v14, vcc_lo, v5, v9, vcc_lo
	global_load_u8 v14, v[13:14], off
.LBB15_38:                              ;   in Loop: Header=BB15_33 Depth=2
	s_or_b32 exec_lo, exec_lo, s24
	s_waitcnt vmcnt(0)
	ds_store_b8 v17, v14
	s_and_b32 exec_lo, exec_lo, s0
	s_cbranch_execz .LBB15_40
; %bb.39:                               ;   in Loop: Header=BB15_33 Depth=2
	ds_load_u8 v13, v1
	s_waitcnt lgkmcnt(0)
	v_mul_lo_u16 v12, v13, v12
	ds_store_b8 v1, v12
.LBB15_40:                              ;   in Loop: Header=BB15_33 Depth=2
	s_or_b32 exec_lo, exec_lo, s22
	v_mov_b32_e32 v19, 0
	s_mov_b32 s22, 0
	s_waitcnt lgkmcnt(0)
	s_barrier
	buffer_gl0_inv
	s_branch .LBB15_43
.LBB15_41:                              ;   in Loop: Header=BB15_43 Depth=3
	s_or_b32 exec_lo, exec_lo, s25
	v_lshrrev_b32_e32 v14, v19, v2
	s_delay_alu instid0(VALU_DEP_1) | instskip(NEXT) | instid1(VALU_DEP_1)
	v_lshl_or_b32 v12, v14, v18, v12
	v_add_nc_u32_e32 v12, v1, v12
	s_delay_alu instid0(VALU_DEP_1)
	v_add_nc_u32_e32 v13, v12, v13
	v_add_nc_u32_e32 v12, -1, v12
	ds_load_u8 v14, v13
	ds_load_u8 v12, v12
	s_waitcnt lgkmcnt(0)
	v_mul_lo_u16 v12, v12, v14
	ds_store_b8 v13, v12
.LBB15_42:                              ;   in Loop: Header=BB15_43 Depth=3
	s_or_b32 exec_lo, exec_lo, s24
	s_delay_alu instid0(VALU_DEP_1)
	v_cmp_eq_u32_e32 vcc_lo, s21, v18
	v_mov_b32_e32 v19, v18
	s_waitcnt lgkmcnt(0)
	s_barrier
	buffer_gl0_inv
	s_or_b32 s22, vcc_lo, s22
	s_delay_alu instid0(SALU_CYCLE_1)
	s_and_not1_b32 exec_lo, exec_lo, s22
	s_cbranch_execz .LBB15_48
.LBB15_43:                              ;   Parent Loop BB15_30 Depth=1
                                        ;     Parent Loop BB15_33 Depth=2
                                        ; =>    This Inner Loop Header: Depth=3
	v_add_nc_u32_e32 v18, 1, v19
	s_and_saveexec_b32 s24, s2
	s_delay_alu instid0(SALU_CYCLE_1)
	s_xor_b32 s24, exec_lo, s24
; %bb.44:                               ;   in Loop: Header=BB15_43 Depth=3
	v_add_nc_u32_e32 v18, 1, v19
                                        ; implicit-def: $vgpr19
; %bb.45:                               ;   in Loop: Header=BB15_43 Depth=3
	s_and_not1_saveexec_b32 s24, s24
	s_cbranch_execz .LBB15_42
; %bb.46:                               ;   in Loop: Header=BB15_43 Depth=3
	v_lshlrev_b32_e64 v12, v19, 1
	s_delay_alu instid0(VALU_DEP_1) | instskip(NEXT) | instid1(VALU_DEP_1)
	v_ashrrev_i32_e32 v13, 31, v12
	v_cmp_ge_u64_e32 vcc_lo, v[2:3], v[12:13]
	v_dual_mov_b32 v14, v3 :: v_dual_mov_b32 v13, v2
	s_and_saveexec_b32 s25, vcc_lo
	s_cbranch_execz .LBB15_41
; %bb.47:                               ;   in Loop: Header=BB15_43 Depth=3
	v_cvt_f32_u32_e32 v13, v12
	v_sub_nc_u32_e32 v14, 0, v12
	s_delay_alu instid0(VALU_DEP_2) | instskip(SKIP_2) | instid1(VALU_DEP_1)
	v_rcp_iflag_f32_e32 v13, v13
	s_waitcnt_depctr 0xfff
	v_mul_f32_e32 v13, 0x4f7ffffe, v13
	v_cvt_u32_f32_e32 v13, v13
	s_delay_alu instid0(VALU_DEP_1) | instskip(NEXT) | instid1(VALU_DEP_1)
	v_mul_lo_u32 v14, v14, v13
	v_mul_hi_u32 v14, v13, v14
	s_delay_alu instid0(VALU_DEP_1) | instskip(NEXT) | instid1(VALU_DEP_1)
	v_add_nc_u32_e32 v13, v13, v14
	v_mul_hi_u32 v13, v2, v13
	s_delay_alu instid0(VALU_DEP_1) | instskip(NEXT) | instid1(VALU_DEP_1)
	v_mul_lo_u32 v13, v13, v12
	v_sub_nc_u32_e32 v13, v2, v13
	s_delay_alu instid0(VALU_DEP_1) | instskip(SKIP_1) | instid1(VALU_DEP_2)
	v_sub_nc_u32_e32 v14, v13, v12
	v_cmp_ge_u32_e32 vcc_lo, v13, v12
	v_cndmask_b32_e32 v13, v13, v14, vcc_lo
	s_delay_alu instid0(VALU_DEP_1) | instskip(SKIP_1) | instid1(VALU_DEP_2)
	v_sub_nc_u32_e32 v14, v13, v12
	v_cmp_ge_u32_e32 vcc_lo, v13, v12
	v_cndmask_b32_e32 v13, v13, v14, vcc_lo
	s_branch .LBB15_41
.LBB15_48:                              ;   in Loop: Header=BB15_33 Depth=2
	s_or_b32 exec_lo, exec_lo, s22
	s_and_saveexec_b32 s22, s1
	s_cbranch_execz .LBB15_32
; %bb.49:                               ;   in Loop: Header=BB15_33 Depth=2
	s_mov_b32 s24, exec_lo
	v_cmpx_gt_u64_e64 s[10:11], v[10:11]
	s_cbranch_execz .LBB15_51
; %bb.50:                               ;   in Loop: Header=BB15_33 Depth=2
	ds_load_u8 v12, v0
	v_add_co_u32 v10, vcc_lo, v6, v10
	v_add_co_ci_u32_e32 v11, vcc_lo, v7, v11, vcc_lo
	s_waitcnt lgkmcnt(0)
	global_store_b8 v[10:11], v12, off
.LBB15_51:                              ;   in Loop: Header=BB15_33 Depth=2
	s_or_b32 exec_lo, exec_lo, s24
	v_cmp_gt_u64_e32 vcc_lo, s[10:11], v[8:9]
	s_and_b32 exec_lo, exec_lo, vcc_lo
	s_cbranch_execz .LBB15_32
; %bb.52:                               ;   in Loop: Header=BB15_33 Depth=2
	ds_load_u8 v10, v17
	v_add_co_u32 v8, vcc_lo, v6, v8
	v_add_co_ci_u32_e32 v9, vcc_lo, v7, v9, vcc_lo
	s_waitcnt lgkmcnt(0)
	global_store_b8 v[8:9], v10, off
	s_branch .LBB15_32
.LBB15_53:
	s_endpgm
	.section	.rodata,"a",@progbits
	.p2align	6, 0x0
	.amdhsa_kernel _ZN2at6native32tensor_kernel_scan_innermost_dimIaSt10multipliesIaEEEvPT_PKS4_jjjS4_T0_
		.amdhsa_group_segment_fixed_size 0
		.amdhsa_private_segment_fixed_size 0
		.amdhsa_kernarg_size 288
		.amdhsa_user_sgpr_count 15
		.amdhsa_user_sgpr_dispatch_ptr 0
		.amdhsa_user_sgpr_queue_ptr 0
		.amdhsa_user_sgpr_kernarg_segment_ptr 1
		.amdhsa_user_sgpr_dispatch_id 0
		.amdhsa_user_sgpr_private_segment_size 0
		.amdhsa_wavefront_size32 1
		.amdhsa_uses_dynamic_stack 0
		.amdhsa_enable_private_segment 0
		.amdhsa_system_sgpr_workgroup_id_x 1
		.amdhsa_system_sgpr_workgroup_id_y 0
		.amdhsa_system_sgpr_workgroup_id_z 0
		.amdhsa_system_sgpr_workgroup_info 0
		.amdhsa_system_vgpr_workitem_id 1
		.amdhsa_next_free_vgpr 20
		.amdhsa_next_free_sgpr 26
		.amdhsa_reserve_vcc 1
		.amdhsa_float_round_mode_32 0
		.amdhsa_float_round_mode_16_64 0
		.amdhsa_float_denorm_mode_32 3
		.amdhsa_float_denorm_mode_16_64 3
		.amdhsa_dx10_clamp 1
		.amdhsa_ieee_mode 1
		.amdhsa_fp16_overflow 0
		.amdhsa_workgroup_processor_mode 1
		.amdhsa_memory_ordered 1
		.amdhsa_forward_progress 0
		.amdhsa_shared_vgpr_count 0
		.amdhsa_exception_fp_ieee_invalid_op 0
		.amdhsa_exception_fp_denorm_src 0
		.amdhsa_exception_fp_ieee_div_zero 0
		.amdhsa_exception_fp_ieee_overflow 0
		.amdhsa_exception_fp_ieee_underflow 0
		.amdhsa_exception_fp_ieee_inexact 0
		.amdhsa_exception_int_div_zero 0
	.end_amdhsa_kernel
	.section	.text._ZN2at6native32tensor_kernel_scan_innermost_dimIaSt10multipliesIaEEEvPT_PKS4_jjjS4_T0_,"axG",@progbits,_ZN2at6native32tensor_kernel_scan_innermost_dimIaSt10multipliesIaEEEvPT_PKS4_jjjS4_T0_,comdat
.Lfunc_end15:
	.size	_ZN2at6native32tensor_kernel_scan_innermost_dimIaSt10multipliesIaEEEvPT_PKS4_jjjS4_T0_, .Lfunc_end15-_ZN2at6native32tensor_kernel_scan_innermost_dimIaSt10multipliesIaEEEvPT_PKS4_jjjS4_T0_
                                        ; -- End function
	.section	.AMDGPU.csdata,"",@progbits
; Kernel info:
; codeLenInByte = 1844
; NumSgprs: 28
; NumVgprs: 20
; ScratchSize: 0
; MemoryBound: 0
; FloatMode: 240
; IeeeMode: 1
; LDSByteSize: 0 bytes/workgroup (compile time only)
; SGPRBlocks: 3
; VGPRBlocks: 2
; NumSGPRsForWavesPerEU: 28
; NumVGPRsForWavesPerEU: 20
; Occupancy: 16
; WaveLimiterHint : 0
; COMPUTE_PGM_RSRC2:SCRATCH_EN: 0
; COMPUTE_PGM_RSRC2:USER_SGPR: 15
; COMPUTE_PGM_RSRC2:TRAP_HANDLER: 0
; COMPUTE_PGM_RSRC2:TGID_X_EN: 1
; COMPUTE_PGM_RSRC2:TGID_Y_EN: 0
; COMPUTE_PGM_RSRC2:TGID_Z_EN: 0
; COMPUTE_PGM_RSRC2:TIDIG_COMP_CNT: 1
	.section	.text._ZN2at6native28tensor_kernel_scan_outer_dimIajSt10multipliesIaEEEvPT_PKS4_jjjS4_T1_,"axG",@progbits,_ZN2at6native28tensor_kernel_scan_outer_dimIajSt10multipliesIaEEEvPT_PKS4_jjjS4_T1_,comdat
	.protected	_ZN2at6native28tensor_kernel_scan_outer_dimIajSt10multipliesIaEEEvPT_PKS4_jjjS4_T1_ ; -- Begin function _ZN2at6native28tensor_kernel_scan_outer_dimIajSt10multipliesIaEEEvPT_PKS4_jjjS4_T1_
	.globl	_ZN2at6native28tensor_kernel_scan_outer_dimIajSt10multipliesIaEEEvPT_PKS4_jjjS4_T1_
	.p2align	8
	.type	_ZN2at6native28tensor_kernel_scan_outer_dimIajSt10multipliesIaEEEvPT_PKS4_jjjS4_T1_,@function
_ZN2at6native28tensor_kernel_scan_outer_dimIajSt10multipliesIaEEEvPT_PKS4_jjjS4_T1_: ; @_ZN2at6native28tensor_kernel_scan_outer_dimIajSt10multipliesIaEEEvPT_PKS4_jjjS4_T1_
; %bb.0:
	s_load_b128 s[4:7], s[0:1], 0x10
	s_waitcnt lgkmcnt(0)
	s_cmp_ge_u32 s14, s4
	s_cbranch_scc1 .LBB16_9
; %bb.1:
	s_clause 0x2
	s_load_b32 s13, s[0:1], 0x2c
	s_load_b32 s12, s[0:1], 0x20
	s_load_b128 s[8:11], s[0:1], 0x0
	s_add_u32 s2, s0, 32
	s_addc_u32 s3, s1, 0
	s_mul_i32 s16, s14, s6
	s_delay_alu instid0(SALU_CYCLE_1)
	s_mul_i32 s16, s16, s5
	s_waitcnt lgkmcnt(0)
	s_and_b32 s1, s13, 0xffff
	s_cmp_lg_u32 s6, 0
	v_mad_u64_u32 v[1:2], null, s15, s1, v[0:1]
	s_mul_i32 s17, s12, s6
	s_mov_b32 s13, s5
	s_cselect_b32 s15, -1, 0
	s_mul_i32 s17, s17, s5
	s_delay_alu instid0(VALU_DEP_1)
	v_cmp_gt_u32_e64 s0, s5, v1
	s_set_inst_prefetch_distance 0x1
	s_branch .LBB16_3
	.p2align	6
.LBB16_2:                               ;   in Loop: Header=BB16_3 Depth=1
	s_or_b32 exec_lo, exec_lo, s18
	s_add_i32 s14, s12, s14
	s_add_i32 s16, s16, s17
	s_cmp_ge_u32 s14, s4
	s_cbranch_scc1 .LBB16_9
.LBB16_3:                               ; =>This Loop Header: Depth=1
                                        ;     Child Loop BB16_6 Depth 2
                                        ;       Child Loop BB16_8 Depth 3
	s_delay_alu instid0(VALU_DEP_1)
	s_and_saveexec_b32 s18, s0
	s_cbranch_execz .LBB16_2
; %bb.4:                                ;   in Loop: Header=BB16_3 Depth=1
	s_load_b32 s19, s[2:3], 0x4
	v_mov_b32_e32 v0, v1
	s_mov_b32 s20, 0
	s_waitcnt lgkmcnt(0)
	s_mul_i32 s19, s19, s1
	s_branch .LBB16_6
	.p2align	6
.LBB16_5:                               ;   in Loop: Header=BB16_6 Depth=2
	v_add_nc_u32_e32 v0, s19, v0
	s_delay_alu instid0(VALU_DEP_1) | instskip(SKIP_1) | instid1(SALU_CYCLE_1)
	v_cmp_le_u32_e32 vcc_lo, s5, v0
	s_or_b32 s20, vcc_lo, s20
	s_and_not1_b32 exec_lo, exec_lo, s20
	s_cbranch_execz .LBB16_2
.LBB16_6:                               ;   Parent Loop BB16_3 Depth=1
                                        ; =>  This Loop Header: Depth=2
                                        ;       Child Loop BB16_8 Depth 3
	s_and_not1_b32 vcc_lo, exec_lo, s15
	s_cbranch_vccnz .LBB16_5
; %bb.7:                                ;   in Loop: Header=BB16_6 Depth=2
	v_add_co_u32 v2, s21, s16, v0
	s_delay_alu instid0(VALU_DEP_1)
	v_add_co_ci_u32_e64 v3, null, 0, 0, s21
	v_mov_b32_e32 v4, s7
	s_mov_b32 s21, s6
	.p2align	6
.LBB16_8:                               ;   Parent Loop BB16_3 Depth=1
                                        ;     Parent Loop BB16_6 Depth=2
                                        ; =>    This Inner Loop Header: Depth=3
	s_delay_alu instid0(VALU_DEP_3) | instskip(NEXT) | instid1(VALU_DEP_3)
	v_add_co_u32 v5, vcc_lo, s10, v2
	v_add_co_ci_u32_e32 v6, vcc_lo, s11, v3, vcc_lo
	s_add_i32 s21, s21, -1
	s_delay_alu instid0(SALU_CYCLE_1)
	s_cmp_eq_u32 s21, 0
	global_load_u8 v7, v[5:6], off
	v_add_co_u32 v5, vcc_lo, s8, v2
	v_add_co_ci_u32_e32 v6, vcc_lo, s9, v3, vcc_lo
	v_add_co_u32 v2, vcc_lo, v2, s13
	v_add_co_ci_u32_e32 v3, vcc_lo, 0, v3, vcc_lo
	s_waitcnt vmcnt(0)
	v_mul_lo_u16 v4, v7, v4
	global_store_b8 v[5:6], v4, off
	s_cbranch_scc0 .LBB16_8
	s_branch .LBB16_5
.LBB16_9:
	s_set_inst_prefetch_distance 0x2
	s_nop 0
	s_sendmsg sendmsg(MSG_DEALLOC_VGPRS)
	s_endpgm
	.section	.rodata,"a",@progbits
	.p2align	6, 0x0
	.amdhsa_kernel _ZN2at6native28tensor_kernel_scan_outer_dimIajSt10multipliesIaEEEvPT_PKS4_jjjS4_T1_
		.amdhsa_group_segment_fixed_size 0
		.amdhsa_private_segment_fixed_size 0
		.amdhsa_kernarg_size 288
		.amdhsa_user_sgpr_count 14
		.amdhsa_user_sgpr_dispatch_ptr 0
		.amdhsa_user_sgpr_queue_ptr 0
		.amdhsa_user_sgpr_kernarg_segment_ptr 1
		.amdhsa_user_sgpr_dispatch_id 0
		.amdhsa_user_sgpr_private_segment_size 0
		.amdhsa_wavefront_size32 1
		.amdhsa_uses_dynamic_stack 0
		.amdhsa_enable_private_segment 0
		.amdhsa_system_sgpr_workgroup_id_x 1
		.amdhsa_system_sgpr_workgroup_id_y 1
		.amdhsa_system_sgpr_workgroup_id_z 0
		.amdhsa_system_sgpr_workgroup_info 0
		.amdhsa_system_vgpr_workitem_id 0
		.amdhsa_next_free_vgpr 8
		.amdhsa_next_free_sgpr 22
		.amdhsa_reserve_vcc 1
		.amdhsa_float_round_mode_32 0
		.amdhsa_float_round_mode_16_64 0
		.amdhsa_float_denorm_mode_32 3
		.amdhsa_float_denorm_mode_16_64 3
		.amdhsa_dx10_clamp 1
		.amdhsa_ieee_mode 1
		.amdhsa_fp16_overflow 0
		.amdhsa_workgroup_processor_mode 1
		.amdhsa_memory_ordered 1
		.amdhsa_forward_progress 0
		.amdhsa_shared_vgpr_count 0
		.amdhsa_exception_fp_ieee_invalid_op 0
		.amdhsa_exception_fp_denorm_src 0
		.amdhsa_exception_fp_ieee_div_zero 0
		.amdhsa_exception_fp_ieee_overflow 0
		.amdhsa_exception_fp_ieee_underflow 0
		.amdhsa_exception_fp_ieee_inexact 0
		.amdhsa_exception_int_div_zero 0
	.end_amdhsa_kernel
	.section	.text._ZN2at6native28tensor_kernel_scan_outer_dimIajSt10multipliesIaEEEvPT_PKS4_jjjS4_T1_,"axG",@progbits,_ZN2at6native28tensor_kernel_scan_outer_dimIajSt10multipliesIaEEEvPT_PKS4_jjjS4_T1_,comdat
.Lfunc_end16:
	.size	_ZN2at6native28tensor_kernel_scan_outer_dimIajSt10multipliesIaEEEvPT_PKS4_jjjS4_T1_, .Lfunc_end16-_ZN2at6native28tensor_kernel_scan_outer_dimIajSt10multipliesIaEEEvPT_PKS4_jjjS4_T1_
                                        ; -- End function
	.section	.AMDGPU.csdata,"",@progbits
; Kernel info:
; codeLenInByte = 352
; NumSgprs: 24
; NumVgprs: 8
; ScratchSize: 0
; MemoryBound: 0
; FloatMode: 240
; IeeeMode: 1
; LDSByteSize: 0 bytes/workgroup (compile time only)
; SGPRBlocks: 2
; VGPRBlocks: 0
; NumSGPRsForWavesPerEU: 24
; NumVGPRsForWavesPerEU: 8
; Occupancy: 16
; WaveLimiterHint : 0
; COMPUTE_PGM_RSRC2:SCRATCH_EN: 0
; COMPUTE_PGM_RSRC2:USER_SGPR: 14
; COMPUTE_PGM_RSRC2:TRAP_HANDLER: 0
; COMPUTE_PGM_RSRC2:TGID_X_EN: 1
; COMPUTE_PGM_RSRC2:TGID_Y_EN: 1
; COMPUTE_PGM_RSRC2:TGID_Z_EN: 0
; COMPUTE_PGM_RSRC2:TIDIG_COMP_CNT: 0
	.section	.text._ZN2at6native28tensor_kernel_scan_outer_dimIamSt10multipliesIaEEEvPT_PKS4_jjjS4_T1_,"axG",@progbits,_ZN2at6native28tensor_kernel_scan_outer_dimIamSt10multipliesIaEEEvPT_PKS4_jjjS4_T1_,comdat
	.protected	_ZN2at6native28tensor_kernel_scan_outer_dimIamSt10multipliesIaEEEvPT_PKS4_jjjS4_T1_ ; -- Begin function _ZN2at6native28tensor_kernel_scan_outer_dimIamSt10multipliesIaEEEvPT_PKS4_jjjS4_T1_
	.globl	_ZN2at6native28tensor_kernel_scan_outer_dimIamSt10multipliesIaEEEvPT_PKS4_jjjS4_T1_
	.p2align	8
	.type	_ZN2at6native28tensor_kernel_scan_outer_dimIamSt10multipliesIaEEEvPT_PKS4_jjjS4_T1_,@function
_ZN2at6native28tensor_kernel_scan_outer_dimIamSt10multipliesIaEEEvPT_PKS4_jjjS4_T1_: ; @_ZN2at6native28tensor_kernel_scan_outer_dimIamSt10multipliesIaEEEvPT_PKS4_jjjS4_T1_
; %bb.0:
	s_load_b128 s[4:7], s[0:1], 0x10
	s_waitcnt lgkmcnt(0)
	s_cmp_ge_u32 s14, s4
	s_cbranch_scc1 .LBB17_9
; %bb.1:
	s_clause 0x2
	s_load_b32 s13, s[0:1], 0x2c
	s_load_b128 s[8:11], s[0:1], 0x0
	s_load_b32 s12, s[0:1], 0x20
	s_add_u32 s2, s0, 32
	s_addc_u32 s3, s1, 0
	s_mul_hi_u32 s16, s6, s5
	s_mul_i32 s17, s6, s5
	s_waitcnt lgkmcnt(0)
	s_and_b32 s1, s13, 0xffff
	s_cmp_lg_u32 s6, 0
	v_mad_u64_u32 v[1:2], null, s15, s1, v[0:1]
	s_cselect_b32 s13, -1, 0
	s_mov_b32 s15, s5
	s_delay_alu instid0(VALU_DEP_1)
	v_cmp_gt_u32_e64 s0, s5, v1
	s_set_inst_prefetch_distance 0x1
	s_branch .LBB17_3
	.p2align	6
.LBB17_2:                               ;   in Loop: Header=BB17_3 Depth=1
	s_or_b32 exec_lo, exec_lo, s18
	s_add_i32 s14, s14, s12
	s_delay_alu instid0(SALU_CYCLE_1)
	s_cmp_ge_u32 s14, s4
	s_cbranch_scc1 .LBB17_9
.LBB17_3:                               ; =>This Loop Header: Depth=1
                                        ;     Child Loop BB17_6 Depth 2
                                        ;       Child Loop BB17_8 Depth 3
	s_delay_alu instid0(VALU_DEP_1)
	s_and_saveexec_b32 s18, s0
	s_cbranch_execz .LBB17_2
; %bb.4:                                ;   in Loop: Header=BB17_3 Depth=1
	s_load_b32 s21, s[2:3], 0x4
	v_mov_b32_e32 v0, v1
	s_mul_i32 s20, s16, s14
	s_mul_hi_u32 s22, s17, s14
	s_mul_i32 s19, s17, s14
	s_add_i32 s20, s22, s20
	s_mov_b32 s22, 0
	s_waitcnt lgkmcnt(0)
	s_mul_i32 s21, s21, s1
	s_branch .LBB17_6
	.p2align	6
.LBB17_5:                               ;   in Loop: Header=BB17_6 Depth=2
	v_add_nc_u32_e32 v0, s21, v0
	s_delay_alu instid0(VALU_DEP_1) | instskip(SKIP_1) | instid1(SALU_CYCLE_1)
	v_cmp_le_u32_e32 vcc_lo, s5, v0
	s_or_b32 s22, vcc_lo, s22
	s_and_not1_b32 exec_lo, exec_lo, s22
	s_cbranch_execz .LBB17_2
.LBB17_6:                               ;   Parent Loop BB17_3 Depth=1
                                        ; =>  This Loop Header: Depth=2
                                        ;       Child Loop BB17_8 Depth 3
	s_and_not1_b32 vcc_lo, exec_lo, s13
	s_cbranch_vccnz .LBB17_5
; %bb.7:                                ;   in Loop: Header=BB17_6 Depth=2
	v_add_co_u32 v2, s23, s19, v0
	s_delay_alu instid0(VALU_DEP_1)
	v_add_co_ci_u32_e64 v3, null, s20, 0, s23
	v_mov_b32_e32 v4, s7
	s_mov_b32 s23, s6
	.p2align	6
.LBB17_8:                               ;   Parent Loop BB17_3 Depth=1
                                        ;     Parent Loop BB17_6 Depth=2
                                        ; =>    This Inner Loop Header: Depth=3
	s_delay_alu instid0(VALU_DEP_3) | instskip(NEXT) | instid1(VALU_DEP_3)
	v_add_co_u32 v5, vcc_lo, s10, v2
	v_add_co_ci_u32_e32 v6, vcc_lo, s11, v3, vcc_lo
	s_add_i32 s23, s23, -1
	s_delay_alu instid0(SALU_CYCLE_1)
	s_cmp_eq_u32 s23, 0
	global_load_u8 v7, v[5:6], off
	v_add_co_u32 v5, vcc_lo, s8, v2
	v_add_co_ci_u32_e32 v6, vcc_lo, s9, v3, vcc_lo
	v_add_co_u32 v2, vcc_lo, v2, s15
	v_add_co_ci_u32_e32 v3, vcc_lo, 0, v3, vcc_lo
	s_waitcnt vmcnt(0)
	v_mul_lo_u16 v4, v7, v4
	global_store_b8 v[5:6], v4, off
	s_cbranch_scc0 .LBB17_8
	s_branch .LBB17_5
.LBB17_9:
	s_set_inst_prefetch_distance 0x2
	s_nop 0
	s_sendmsg sendmsg(MSG_DEALLOC_VGPRS)
	s_endpgm
	.section	.rodata,"a",@progbits
	.p2align	6, 0x0
	.amdhsa_kernel _ZN2at6native28tensor_kernel_scan_outer_dimIamSt10multipliesIaEEEvPT_PKS4_jjjS4_T1_
		.amdhsa_group_segment_fixed_size 0
		.amdhsa_private_segment_fixed_size 0
		.amdhsa_kernarg_size 288
		.amdhsa_user_sgpr_count 14
		.amdhsa_user_sgpr_dispatch_ptr 0
		.amdhsa_user_sgpr_queue_ptr 0
		.amdhsa_user_sgpr_kernarg_segment_ptr 1
		.amdhsa_user_sgpr_dispatch_id 0
		.amdhsa_user_sgpr_private_segment_size 0
		.amdhsa_wavefront_size32 1
		.amdhsa_uses_dynamic_stack 0
		.amdhsa_enable_private_segment 0
		.amdhsa_system_sgpr_workgroup_id_x 1
		.amdhsa_system_sgpr_workgroup_id_y 1
		.amdhsa_system_sgpr_workgroup_id_z 0
		.amdhsa_system_sgpr_workgroup_info 0
		.amdhsa_system_vgpr_workitem_id 0
		.amdhsa_next_free_vgpr 8
		.amdhsa_next_free_sgpr 24
		.amdhsa_reserve_vcc 1
		.amdhsa_float_round_mode_32 0
		.amdhsa_float_round_mode_16_64 0
		.amdhsa_float_denorm_mode_32 3
		.amdhsa_float_denorm_mode_16_64 3
		.amdhsa_dx10_clamp 1
		.amdhsa_ieee_mode 1
		.amdhsa_fp16_overflow 0
		.amdhsa_workgroup_processor_mode 1
		.amdhsa_memory_ordered 1
		.amdhsa_forward_progress 0
		.amdhsa_shared_vgpr_count 0
		.amdhsa_exception_fp_ieee_invalid_op 0
		.amdhsa_exception_fp_denorm_src 0
		.amdhsa_exception_fp_ieee_div_zero 0
		.amdhsa_exception_fp_ieee_overflow 0
		.amdhsa_exception_fp_ieee_underflow 0
		.amdhsa_exception_fp_ieee_inexact 0
		.amdhsa_exception_int_div_zero 0
	.end_amdhsa_kernel
	.section	.text._ZN2at6native28tensor_kernel_scan_outer_dimIamSt10multipliesIaEEEvPT_PKS4_jjjS4_T1_,"axG",@progbits,_ZN2at6native28tensor_kernel_scan_outer_dimIamSt10multipliesIaEEEvPT_PKS4_jjjS4_T1_,comdat
.Lfunc_end17:
	.size	_ZN2at6native28tensor_kernel_scan_outer_dimIamSt10multipliesIaEEEvPT_PKS4_jjjS4_T1_, .Lfunc_end17-_ZN2at6native28tensor_kernel_scan_outer_dimIamSt10multipliesIaEEEvPT_PKS4_jjjS4_T1_
                                        ; -- End function
	.section	.AMDGPU.csdata,"",@progbits
; Kernel info:
; codeLenInByte = 356
; NumSgprs: 26
; NumVgprs: 8
; ScratchSize: 0
; MemoryBound: 0
; FloatMode: 240
; IeeeMode: 1
; LDSByteSize: 0 bytes/workgroup (compile time only)
; SGPRBlocks: 3
; VGPRBlocks: 0
; NumSGPRsForWavesPerEU: 26
; NumVGPRsForWavesPerEU: 8
; Occupancy: 16
; WaveLimiterHint : 0
; COMPUTE_PGM_RSRC2:SCRATCH_EN: 0
; COMPUTE_PGM_RSRC2:USER_SGPR: 14
; COMPUTE_PGM_RSRC2:TRAP_HANDLER: 0
; COMPUTE_PGM_RSRC2:TGID_X_EN: 1
; COMPUTE_PGM_RSRC2:TGID_Y_EN: 1
; COMPUTE_PGM_RSRC2:TGID_Z_EN: 0
; COMPUTE_PGM_RSRC2:TIDIG_COMP_CNT: 0
	.section	.text._ZN7rocprim17ROCPRIM_304000_NS6detail31init_lookback_scan_state_kernelINS1_19lookback_scan_stateIiLb1ELb1EEEEEvT_jjPNS5_10value_typeE,"axG",@progbits,_ZN7rocprim17ROCPRIM_304000_NS6detail31init_lookback_scan_state_kernelINS1_19lookback_scan_stateIiLb1ELb1EEEEEvT_jjPNS5_10value_typeE,comdat
	.protected	_ZN7rocprim17ROCPRIM_304000_NS6detail31init_lookback_scan_state_kernelINS1_19lookback_scan_stateIiLb1ELb1EEEEEvT_jjPNS5_10value_typeE ; -- Begin function _ZN7rocprim17ROCPRIM_304000_NS6detail31init_lookback_scan_state_kernelINS1_19lookback_scan_stateIiLb1ELb1EEEEEvT_jjPNS5_10value_typeE
	.globl	_ZN7rocprim17ROCPRIM_304000_NS6detail31init_lookback_scan_state_kernelINS1_19lookback_scan_stateIiLb1ELb1EEEEEvT_jjPNS5_10value_typeE
	.p2align	8
	.type	_ZN7rocprim17ROCPRIM_304000_NS6detail31init_lookback_scan_state_kernelINS1_19lookback_scan_stateIiLb1ELb1EEEEEvT_jjPNS5_10value_typeE,@function
_ZN7rocprim17ROCPRIM_304000_NS6detail31init_lookback_scan_state_kernelINS1_19lookback_scan_stateIiLb1ELb1EEEEEvT_jjPNS5_10value_typeE: ; @_ZN7rocprim17ROCPRIM_304000_NS6detail31init_lookback_scan_state_kernelINS1_19lookback_scan_stateIiLb1ELb1EEEEEvT_jjPNS5_10value_typeE
; %bb.0:
	s_clause 0x2
	s_load_b32 s6, s[0:1], 0x24
	s_load_b64 s[4:5], s[0:1], 0x10
	s_load_b128 s[0:3], s[0:1], 0x0
	s_waitcnt lgkmcnt(0)
	s_and_b32 s6, s6, 0xffff
	s_cmp_eq_u64 s[4:5], 0
	v_mad_u64_u32 v[1:2], null, s15, s6, v[0:1]
	s_cbranch_scc1 .LBB18_9
; %bb.1:
	s_cmp_lt_u32 s3, s2
	s_mov_b32 s7, 0
	s_cselect_b32 s6, s3, 0
	s_mov_b32 s8, exec_lo
	s_delay_alu instid0(VALU_DEP_1)
	v_cmpx_eq_u32_e64 s6, v1
	s_cbranch_execz .LBB18_8
; %bb.2:
	s_add_i32 s6, s3, 32
	v_mov_b32_e32 v2, 0
	s_lshl_b64 s[6:7], s[6:7], 3
	s_delay_alu instid0(SALU_CYCLE_1) | instskip(SKIP_4) | instid1(VALU_DEP_1)
	s_add_u32 s6, s0, s6
	s_addc_u32 s7, s1, s7
	global_load_b64 v[4:5], v2, s[6:7] glc
	s_waitcnt vmcnt(0)
	v_and_b32_e32 v3, 0xff, v5
	v_cmp_ne_u64_e32 vcc_lo, 0, v[2:3]
	s_cbranch_vccnz .LBB18_7
; %bb.3:
	s_mov_b32 s3, 1
.LBB18_4:                               ; =>This Loop Header: Depth=1
                                        ;     Child Loop BB18_5 Depth 2
	s_delay_alu instid0(SALU_CYCLE_1)
	s_max_u32 s9, s3, 1
.LBB18_5:                               ;   Parent Loop BB18_4 Depth=1
                                        ; =>  This Inner Loop Header: Depth=2
	s_delay_alu instid0(SALU_CYCLE_1)
	s_add_i32 s9, s9, -1
	s_sleep 1
	s_cmp_eq_u32 s9, 0
	s_cbranch_scc0 .LBB18_5
; %bb.6:                                ;   in Loop: Header=BB18_4 Depth=1
	global_load_b64 v[4:5], v2, s[6:7] glc
	s_cmp_lt_u32 s3, 32
	s_cselect_b32 s9, -1, 0
	s_delay_alu instid0(SALU_CYCLE_1) | instskip(SKIP_3) | instid1(VALU_DEP_1)
	s_cmp_lg_u32 s9, 0
	s_addc_u32 s3, s3, 0
	s_waitcnt vmcnt(0)
	v_and_b32_e32 v3, 0xff, v5
	v_cmp_ne_u64_e32 vcc_lo, 0, v[2:3]
	s_cbranch_vccz .LBB18_4
.LBB18_7:
	v_mov_b32_e32 v0, 0
	global_store_b32 v0, v4, s[4:5]
.LBB18_8:
	s_or_b32 exec_lo, exec_lo, s8
.LBB18_9:
	s_delay_alu instid0(VALU_DEP_1)
	v_cmp_gt_u32_e32 vcc_lo, s2, v1
	s_and_saveexec_b32 s2, vcc_lo
	s_cbranch_execz .LBB18_11
; %bb.10:
	v_dual_mov_b32 v3, 0 :: v_dual_add_nc_u32 v2, 32, v1
	s_delay_alu instid0(VALU_DEP_1) | instskip(SKIP_1) | instid1(VALU_DEP_2)
	v_lshlrev_b64 v[4:5], 3, v[2:3]
	v_mov_b32_e32 v2, v3
	v_add_co_u32 v4, vcc_lo, s0, v4
	s_delay_alu instid0(VALU_DEP_3)
	v_add_co_ci_u32_e32 v5, vcc_lo, s1, v5, vcc_lo
	global_store_b64 v[4:5], v[2:3], off
.LBB18_11:
	s_or_b32 exec_lo, exec_lo, s2
	s_delay_alu instid0(SALU_CYCLE_1)
	s_mov_b32 s2, exec_lo
	v_cmpx_gt_u32_e32 32, v1
	s_cbranch_execz .LBB18_13
; %bb.12:
	v_dual_mov_b32 v2, 0 :: v_dual_mov_b32 v3, 0xff
	s_delay_alu instid0(VALU_DEP_1) | instskip(NEXT) | instid1(VALU_DEP_1)
	v_lshlrev_b64 v[0:1], 3, v[1:2]
	v_add_co_u32 v0, vcc_lo, s0, v0
	s_delay_alu instid0(VALU_DEP_2)
	v_add_co_ci_u32_e32 v1, vcc_lo, s1, v1, vcc_lo
	global_store_b64 v[0:1], v[2:3], off
.LBB18_13:
	s_nop 0
	s_sendmsg sendmsg(MSG_DEALLOC_VGPRS)
	s_endpgm
	.section	.rodata,"a",@progbits
	.p2align	6, 0x0
	.amdhsa_kernel _ZN7rocprim17ROCPRIM_304000_NS6detail31init_lookback_scan_state_kernelINS1_19lookback_scan_stateIiLb1ELb1EEEEEvT_jjPNS5_10value_typeE
		.amdhsa_group_segment_fixed_size 0
		.amdhsa_private_segment_fixed_size 0
		.amdhsa_kernarg_size 280
		.amdhsa_user_sgpr_count 15
		.amdhsa_user_sgpr_dispatch_ptr 0
		.amdhsa_user_sgpr_queue_ptr 0
		.amdhsa_user_sgpr_kernarg_segment_ptr 1
		.amdhsa_user_sgpr_dispatch_id 0
		.amdhsa_user_sgpr_private_segment_size 0
		.amdhsa_wavefront_size32 1
		.amdhsa_uses_dynamic_stack 0
		.amdhsa_enable_private_segment 0
		.amdhsa_system_sgpr_workgroup_id_x 1
		.amdhsa_system_sgpr_workgroup_id_y 0
		.amdhsa_system_sgpr_workgroup_id_z 0
		.amdhsa_system_sgpr_workgroup_info 0
		.amdhsa_system_vgpr_workitem_id 0
		.amdhsa_next_free_vgpr 6
		.amdhsa_next_free_sgpr 16
		.amdhsa_reserve_vcc 1
		.amdhsa_float_round_mode_32 0
		.amdhsa_float_round_mode_16_64 0
		.amdhsa_float_denorm_mode_32 3
		.amdhsa_float_denorm_mode_16_64 3
		.amdhsa_dx10_clamp 1
		.amdhsa_ieee_mode 1
		.amdhsa_fp16_overflow 0
		.amdhsa_workgroup_processor_mode 1
		.amdhsa_memory_ordered 1
		.amdhsa_forward_progress 0
		.amdhsa_shared_vgpr_count 0
		.amdhsa_exception_fp_ieee_invalid_op 0
		.amdhsa_exception_fp_denorm_src 0
		.amdhsa_exception_fp_ieee_div_zero 0
		.amdhsa_exception_fp_ieee_overflow 0
		.amdhsa_exception_fp_ieee_underflow 0
		.amdhsa_exception_fp_ieee_inexact 0
		.amdhsa_exception_int_div_zero 0
	.end_amdhsa_kernel
	.section	.text._ZN7rocprim17ROCPRIM_304000_NS6detail31init_lookback_scan_state_kernelINS1_19lookback_scan_stateIiLb1ELb1EEEEEvT_jjPNS5_10value_typeE,"axG",@progbits,_ZN7rocprim17ROCPRIM_304000_NS6detail31init_lookback_scan_state_kernelINS1_19lookback_scan_stateIiLb1ELb1EEEEEvT_jjPNS5_10value_typeE,comdat
.Lfunc_end18:
	.size	_ZN7rocprim17ROCPRIM_304000_NS6detail31init_lookback_scan_state_kernelINS1_19lookback_scan_stateIiLb1ELb1EEEEEvT_jjPNS5_10value_typeE, .Lfunc_end18-_ZN7rocprim17ROCPRIM_304000_NS6detail31init_lookback_scan_state_kernelINS1_19lookback_scan_stateIiLb1ELb1EEEEEvT_jjPNS5_10value_typeE
                                        ; -- End function
	.section	.AMDGPU.csdata,"",@progbits
; Kernel info:
; codeLenInByte = 380
; NumSgprs: 18
; NumVgprs: 6
; ScratchSize: 0
; MemoryBound: 0
; FloatMode: 240
; IeeeMode: 1
; LDSByteSize: 0 bytes/workgroup (compile time only)
; SGPRBlocks: 2
; VGPRBlocks: 0
; NumSGPRsForWavesPerEU: 18
; NumVGPRsForWavesPerEU: 6
; Occupancy: 16
; WaveLimiterHint : 0
; COMPUTE_PGM_RSRC2:SCRATCH_EN: 0
; COMPUTE_PGM_RSRC2:USER_SGPR: 15
; COMPUTE_PGM_RSRC2:TRAP_HANDLER: 0
; COMPUTE_PGM_RSRC2:TGID_X_EN: 1
; COMPUTE_PGM_RSRC2:TGID_Y_EN: 0
; COMPUTE_PGM_RSRC2:TGID_Z_EN: 0
; COMPUTE_PGM_RSRC2:TIDIG_COMP_CNT: 0
	.section	.text._ZN7rocprim17ROCPRIM_304000_NS6detail31init_lookback_scan_state_kernelINS1_19lookback_scan_stateIiLb0ELb1EEEEEvT_jjPNS5_10value_typeE,"axG",@progbits,_ZN7rocprim17ROCPRIM_304000_NS6detail31init_lookback_scan_state_kernelINS1_19lookback_scan_stateIiLb0ELb1EEEEEvT_jjPNS5_10value_typeE,comdat
	.protected	_ZN7rocprim17ROCPRIM_304000_NS6detail31init_lookback_scan_state_kernelINS1_19lookback_scan_stateIiLb0ELb1EEEEEvT_jjPNS5_10value_typeE ; -- Begin function _ZN7rocprim17ROCPRIM_304000_NS6detail31init_lookback_scan_state_kernelINS1_19lookback_scan_stateIiLb0ELb1EEEEEvT_jjPNS5_10value_typeE
	.globl	_ZN7rocprim17ROCPRIM_304000_NS6detail31init_lookback_scan_state_kernelINS1_19lookback_scan_stateIiLb0ELb1EEEEEvT_jjPNS5_10value_typeE
	.p2align	8
	.type	_ZN7rocprim17ROCPRIM_304000_NS6detail31init_lookback_scan_state_kernelINS1_19lookback_scan_stateIiLb0ELb1EEEEEvT_jjPNS5_10value_typeE,@function
_ZN7rocprim17ROCPRIM_304000_NS6detail31init_lookback_scan_state_kernelINS1_19lookback_scan_stateIiLb0ELb1EEEEEvT_jjPNS5_10value_typeE: ; @_ZN7rocprim17ROCPRIM_304000_NS6detail31init_lookback_scan_state_kernelINS1_19lookback_scan_stateIiLb0ELb1EEEEEvT_jjPNS5_10value_typeE
; %bb.0:
	s_clause 0x2
	s_load_b32 s6, s[0:1], 0x24
	s_load_b64 s[4:5], s[0:1], 0x10
	s_load_b128 s[0:3], s[0:1], 0x0
	s_waitcnt lgkmcnt(0)
	s_and_b32 s6, s6, 0xffff
	s_cmp_eq_u64 s[4:5], 0
	v_mad_u64_u32 v[1:2], null, s15, s6, v[0:1]
	s_cbranch_scc1 .LBB19_6
; %bb.1:
	s_cmp_lt_u32 s3, s2
	s_mov_b32 s7, 0
	s_cselect_b32 s6, s3, 0
	s_mov_b32 s8, exec_lo
	s_delay_alu instid0(VALU_DEP_1)
	v_cmpx_eq_u32_e64 s6, v1
	s_cbranch_execz .LBB19_5
; %bb.2:
	s_add_i32 s6, s3, 32
	v_mov_b32_e32 v4, 0
	s_lshl_b64 s[6:7], s[6:7], 3
	s_delay_alu instid0(SALU_CYCLE_1) | instskip(SKIP_4) | instid1(VALU_DEP_1)
	s_add_u32 s6, s0, s6
	s_addc_u32 s7, s1, s7
	global_load_b64 v[2:3], v4, s[6:7] glc
	s_waitcnt vmcnt(0)
	v_and_b32_e32 v5, 0xff, v3
	v_cmp_ne_u64_e32 vcc_lo, 0, v[4:5]
	s_cbranch_vccnz .LBB19_4
.LBB19_3:                               ; =>This Inner Loop Header: Depth=1
	global_load_b64 v[2:3], v4, s[6:7] glc
	s_waitcnt vmcnt(0)
	v_and_b32_e32 v5, 0xff, v3
	s_delay_alu instid0(VALU_DEP_1)
	v_cmp_eq_u64_e32 vcc_lo, 0, v[4:5]
	s_cbranch_vccnz .LBB19_3
.LBB19_4:
	v_mov_b32_e32 v0, 0
	global_store_b32 v0, v2, s[4:5]
.LBB19_5:
	s_or_b32 exec_lo, exec_lo, s8
.LBB19_6:
	s_delay_alu instid0(VALU_DEP_1)
	v_cmp_gt_u32_e32 vcc_lo, s2, v1
	s_and_saveexec_b32 s2, vcc_lo
	s_cbranch_execz .LBB19_8
; %bb.7:
	v_dual_mov_b32 v3, 0 :: v_dual_add_nc_u32 v2, 32, v1
	s_delay_alu instid0(VALU_DEP_1) | instskip(SKIP_1) | instid1(VALU_DEP_2)
	v_lshlrev_b64 v[4:5], 3, v[2:3]
	v_mov_b32_e32 v2, v3
	v_add_co_u32 v4, vcc_lo, s0, v4
	s_delay_alu instid0(VALU_DEP_3)
	v_add_co_ci_u32_e32 v5, vcc_lo, s1, v5, vcc_lo
	global_store_b64 v[4:5], v[2:3], off
.LBB19_8:
	s_or_b32 exec_lo, exec_lo, s2
	s_delay_alu instid0(SALU_CYCLE_1)
	s_mov_b32 s2, exec_lo
	v_cmpx_gt_u32_e32 32, v1
	s_cbranch_execz .LBB19_10
; %bb.9:
	v_dual_mov_b32 v2, 0 :: v_dual_mov_b32 v3, 0xff
	s_delay_alu instid0(VALU_DEP_1) | instskip(NEXT) | instid1(VALU_DEP_1)
	v_lshlrev_b64 v[0:1], 3, v[1:2]
	v_add_co_u32 v0, vcc_lo, s0, v0
	s_delay_alu instid0(VALU_DEP_2)
	v_add_co_ci_u32_e32 v1, vcc_lo, s1, v1, vcc_lo
	global_store_b64 v[0:1], v[2:3], off
.LBB19_10:
	s_nop 0
	s_sendmsg sendmsg(MSG_DEALLOC_VGPRS)
	s_endpgm
	.section	.rodata,"a",@progbits
	.p2align	6, 0x0
	.amdhsa_kernel _ZN7rocprim17ROCPRIM_304000_NS6detail31init_lookback_scan_state_kernelINS1_19lookback_scan_stateIiLb0ELb1EEEEEvT_jjPNS5_10value_typeE
		.amdhsa_group_segment_fixed_size 0
		.amdhsa_private_segment_fixed_size 0
		.amdhsa_kernarg_size 280
		.amdhsa_user_sgpr_count 15
		.amdhsa_user_sgpr_dispatch_ptr 0
		.amdhsa_user_sgpr_queue_ptr 0
		.amdhsa_user_sgpr_kernarg_segment_ptr 1
		.amdhsa_user_sgpr_dispatch_id 0
		.amdhsa_user_sgpr_private_segment_size 0
		.amdhsa_wavefront_size32 1
		.amdhsa_uses_dynamic_stack 0
		.amdhsa_enable_private_segment 0
		.amdhsa_system_sgpr_workgroup_id_x 1
		.amdhsa_system_sgpr_workgroup_id_y 0
		.amdhsa_system_sgpr_workgroup_id_z 0
		.amdhsa_system_sgpr_workgroup_info 0
		.amdhsa_system_vgpr_workitem_id 0
		.amdhsa_next_free_vgpr 6
		.amdhsa_next_free_sgpr 16
		.amdhsa_reserve_vcc 1
		.amdhsa_float_round_mode_32 0
		.amdhsa_float_round_mode_16_64 0
		.amdhsa_float_denorm_mode_32 3
		.amdhsa_float_denorm_mode_16_64 3
		.amdhsa_dx10_clamp 1
		.amdhsa_ieee_mode 1
		.amdhsa_fp16_overflow 0
		.amdhsa_workgroup_processor_mode 1
		.amdhsa_memory_ordered 1
		.amdhsa_forward_progress 0
		.amdhsa_shared_vgpr_count 0
		.amdhsa_exception_fp_ieee_invalid_op 0
		.amdhsa_exception_fp_denorm_src 0
		.amdhsa_exception_fp_ieee_div_zero 0
		.amdhsa_exception_fp_ieee_overflow 0
		.amdhsa_exception_fp_ieee_underflow 0
		.amdhsa_exception_fp_ieee_inexact 0
		.amdhsa_exception_int_div_zero 0
	.end_amdhsa_kernel
	.section	.text._ZN7rocprim17ROCPRIM_304000_NS6detail31init_lookback_scan_state_kernelINS1_19lookback_scan_stateIiLb0ELb1EEEEEvT_jjPNS5_10value_typeE,"axG",@progbits,_ZN7rocprim17ROCPRIM_304000_NS6detail31init_lookback_scan_state_kernelINS1_19lookback_scan_stateIiLb0ELb1EEEEEvT_jjPNS5_10value_typeE,comdat
.Lfunc_end19:
	.size	_ZN7rocprim17ROCPRIM_304000_NS6detail31init_lookback_scan_state_kernelINS1_19lookback_scan_stateIiLb0ELb1EEEEEvT_jjPNS5_10value_typeE, .Lfunc_end19-_ZN7rocprim17ROCPRIM_304000_NS6detail31init_lookback_scan_state_kernelINS1_19lookback_scan_stateIiLb0ELb1EEEEEvT_jjPNS5_10value_typeE
                                        ; -- End function
	.section	.AMDGPU.csdata,"",@progbits
; Kernel info:
; codeLenInByte = 332
; NumSgprs: 18
; NumVgprs: 6
; ScratchSize: 0
; MemoryBound: 0
; FloatMode: 240
; IeeeMode: 1
; LDSByteSize: 0 bytes/workgroup (compile time only)
; SGPRBlocks: 2
; VGPRBlocks: 0
; NumSGPRsForWavesPerEU: 18
; NumVGPRsForWavesPerEU: 6
; Occupancy: 16
; WaveLimiterHint : 0
; COMPUTE_PGM_RSRC2:SCRATCH_EN: 0
; COMPUTE_PGM_RSRC2:USER_SGPR: 15
; COMPUTE_PGM_RSRC2:TRAP_HANDLER: 0
; COMPUTE_PGM_RSRC2:TGID_X_EN: 1
; COMPUTE_PGM_RSRC2:TGID_Y_EN: 0
; COMPUTE_PGM_RSRC2:TGID_Z_EN: 0
; COMPUTE_PGM_RSRC2:TIDIG_COMP_CNT: 0
	.section	.text._ZN7rocprim17ROCPRIM_304000_NS6detail20lookback_scan_kernelILNS1_25lookback_scan_determinismE0ELb0ENS1_19wrapped_scan_configINS0_14default_configEiEEPKiPiSt10multipliesIiEiiNS1_19lookback_scan_stateIiLb1ELb1EEEEEvT2_T3_mT5_T4_T7_jPT6_SK_bb,"axG",@progbits,_ZN7rocprim17ROCPRIM_304000_NS6detail20lookback_scan_kernelILNS1_25lookback_scan_determinismE0ELb0ENS1_19wrapped_scan_configINS0_14default_configEiEEPKiPiSt10multipliesIiEiiNS1_19lookback_scan_stateIiLb1ELb1EEEEEvT2_T3_mT5_T4_T7_jPT6_SK_bb,comdat
	.protected	_ZN7rocprim17ROCPRIM_304000_NS6detail20lookback_scan_kernelILNS1_25lookback_scan_determinismE0ELb0ENS1_19wrapped_scan_configINS0_14default_configEiEEPKiPiSt10multipliesIiEiiNS1_19lookback_scan_stateIiLb1ELb1EEEEEvT2_T3_mT5_T4_T7_jPT6_SK_bb ; -- Begin function _ZN7rocprim17ROCPRIM_304000_NS6detail20lookback_scan_kernelILNS1_25lookback_scan_determinismE0ELb0ENS1_19wrapped_scan_configINS0_14default_configEiEEPKiPiSt10multipliesIiEiiNS1_19lookback_scan_stateIiLb1ELb1EEEEEvT2_T3_mT5_T4_T7_jPT6_SK_bb
	.globl	_ZN7rocprim17ROCPRIM_304000_NS6detail20lookback_scan_kernelILNS1_25lookback_scan_determinismE0ELb0ENS1_19wrapped_scan_configINS0_14default_configEiEEPKiPiSt10multipliesIiEiiNS1_19lookback_scan_stateIiLb1ELb1EEEEEvT2_T3_mT5_T4_T7_jPT6_SK_bb
	.p2align	8
	.type	_ZN7rocprim17ROCPRIM_304000_NS6detail20lookback_scan_kernelILNS1_25lookback_scan_determinismE0ELb0ENS1_19wrapped_scan_configINS0_14default_configEiEEPKiPiSt10multipliesIiEiiNS1_19lookback_scan_stateIiLb1ELb1EEEEEvT2_T3_mT5_T4_T7_jPT6_SK_bb,@function
_ZN7rocprim17ROCPRIM_304000_NS6detail20lookback_scan_kernelILNS1_25lookback_scan_determinismE0ELb0ENS1_19wrapped_scan_configINS0_14default_configEiEEPKiPiSt10multipliesIiEiiNS1_19lookback_scan_stateIiLb1ELb1EEEEEvT2_T3_mT5_T4_T7_jPT6_SK_bb: ; @_ZN7rocprim17ROCPRIM_304000_NS6detail20lookback_scan_kernelILNS1_25lookback_scan_determinismE0ELb0ENS1_19wrapped_scan_configINS0_14default_configEiEEPKiPiSt10multipliesIiEiiNS1_19lookback_scan_stateIiLb1ELb1EEEEEvT2_T3_mT5_T4_T7_jPT6_SK_bb
; %bb.0:
	s_endpgm
	.section	.rodata,"a",@progbits
	.p2align	6, 0x0
	.amdhsa_kernel _ZN7rocprim17ROCPRIM_304000_NS6detail20lookback_scan_kernelILNS1_25lookback_scan_determinismE0ELb0ENS1_19wrapped_scan_configINS0_14default_configEiEEPKiPiSt10multipliesIiEiiNS1_19lookback_scan_stateIiLb1ELb1EEEEEvT2_T3_mT5_T4_T7_jPT6_SK_bb
		.amdhsa_group_segment_fixed_size 0
		.amdhsa_private_segment_fixed_size 0
		.amdhsa_kernarg_size 68
		.amdhsa_user_sgpr_count 15
		.amdhsa_user_sgpr_dispatch_ptr 0
		.amdhsa_user_sgpr_queue_ptr 0
		.amdhsa_user_sgpr_kernarg_segment_ptr 1
		.amdhsa_user_sgpr_dispatch_id 0
		.amdhsa_user_sgpr_private_segment_size 0
		.amdhsa_wavefront_size32 1
		.amdhsa_uses_dynamic_stack 0
		.amdhsa_enable_private_segment 0
		.amdhsa_system_sgpr_workgroup_id_x 1
		.amdhsa_system_sgpr_workgroup_id_y 0
		.amdhsa_system_sgpr_workgroup_id_z 0
		.amdhsa_system_sgpr_workgroup_info 0
		.amdhsa_system_vgpr_workitem_id 0
		.amdhsa_next_free_vgpr 1
		.amdhsa_next_free_sgpr 1
		.amdhsa_reserve_vcc 0
		.amdhsa_float_round_mode_32 0
		.amdhsa_float_round_mode_16_64 0
		.amdhsa_float_denorm_mode_32 3
		.amdhsa_float_denorm_mode_16_64 3
		.amdhsa_dx10_clamp 1
		.amdhsa_ieee_mode 1
		.amdhsa_fp16_overflow 0
		.amdhsa_workgroup_processor_mode 1
		.amdhsa_memory_ordered 1
		.amdhsa_forward_progress 0
		.amdhsa_shared_vgpr_count 0
		.amdhsa_exception_fp_ieee_invalid_op 0
		.amdhsa_exception_fp_denorm_src 0
		.amdhsa_exception_fp_ieee_div_zero 0
		.amdhsa_exception_fp_ieee_overflow 0
		.amdhsa_exception_fp_ieee_underflow 0
		.amdhsa_exception_fp_ieee_inexact 0
		.amdhsa_exception_int_div_zero 0
	.end_amdhsa_kernel
	.section	.text._ZN7rocprim17ROCPRIM_304000_NS6detail20lookback_scan_kernelILNS1_25lookback_scan_determinismE0ELb0ENS1_19wrapped_scan_configINS0_14default_configEiEEPKiPiSt10multipliesIiEiiNS1_19lookback_scan_stateIiLb1ELb1EEEEEvT2_T3_mT5_T4_T7_jPT6_SK_bb,"axG",@progbits,_ZN7rocprim17ROCPRIM_304000_NS6detail20lookback_scan_kernelILNS1_25lookback_scan_determinismE0ELb0ENS1_19wrapped_scan_configINS0_14default_configEiEEPKiPiSt10multipliesIiEiiNS1_19lookback_scan_stateIiLb1ELb1EEEEEvT2_T3_mT5_T4_T7_jPT6_SK_bb,comdat
.Lfunc_end20:
	.size	_ZN7rocprim17ROCPRIM_304000_NS6detail20lookback_scan_kernelILNS1_25lookback_scan_determinismE0ELb0ENS1_19wrapped_scan_configINS0_14default_configEiEEPKiPiSt10multipliesIiEiiNS1_19lookback_scan_stateIiLb1ELb1EEEEEvT2_T3_mT5_T4_T7_jPT6_SK_bb, .Lfunc_end20-_ZN7rocprim17ROCPRIM_304000_NS6detail20lookback_scan_kernelILNS1_25lookback_scan_determinismE0ELb0ENS1_19wrapped_scan_configINS0_14default_configEiEEPKiPiSt10multipliesIiEiiNS1_19lookback_scan_stateIiLb1ELb1EEEEEvT2_T3_mT5_T4_T7_jPT6_SK_bb
                                        ; -- End function
	.section	.AMDGPU.csdata,"",@progbits
; Kernel info:
; codeLenInByte = 4
; NumSgprs: 0
; NumVgprs: 0
; ScratchSize: 0
; MemoryBound: 0
; FloatMode: 240
; IeeeMode: 1
; LDSByteSize: 0 bytes/workgroup (compile time only)
; SGPRBlocks: 0
; VGPRBlocks: 0
; NumSGPRsForWavesPerEU: 1
; NumVGPRsForWavesPerEU: 1
; Occupancy: 16
; WaveLimiterHint : 0
; COMPUTE_PGM_RSRC2:SCRATCH_EN: 0
; COMPUTE_PGM_RSRC2:USER_SGPR: 15
; COMPUTE_PGM_RSRC2:TRAP_HANDLER: 0
; COMPUTE_PGM_RSRC2:TGID_X_EN: 1
; COMPUTE_PGM_RSRC2:TGID_Y_EN: 0
; COMPUTE_PGM_RSRC2:TGID_Z_EN: 0
; COMPUTE_PGM_RSRC2:TIDIG_COMP_CNT: 0
	.section	.text._ZN7rocprim17ROCPRIM_304000_NS6detail20lookback_scan_kernelILNS1_25lookback_scan_determinismE0ELb0ENS1_19wrapped_scan_configINS0_14default_configEiEEPKiPiSt10multipliesIiEiiNS1_19lookback_scan_stateIiLb0ELb1EEEEEvT2_T3_mT5_T4_T7_jPT6_SK_bb,"axG",@progbits,_ZN7rocprim17ROCPRIM_304000_NS6detail20lookback_scan_kernelILNS1_25lookback_scan_determinismE0ELb0ENS1_19wrapped_scan_configINS0_14default_configEiEEPKiPiSt10multipliesIiEiiNS1_19lookback_scan_stateIiLb0ELb1EEEEEvT2_T3_mT5_T4_T7_jPT6_SK_bb,comdat
	.protected	_ZN7rocprim17ROCPRIM_304000_NS6detail20lookback_scan_kernelILNS1_25lookback_scan_determinismE0ELb0ENS1_19wrapped_scan_configINS0_14default_configEiEEPKiPiSt10multipliesIiEiiNS1_19lookback_scan_stateIiLb0ELb1EEEEEvT2_T3_mT5_T4_T7_jPT6_SK_bb ; -- Begin function _ZN7rocprim17ROCPRIM_304000_NS6detail20lookback_scan_kernelILNS1_25lookback_scan_determinismE0ELb0ENS1_19wrapped_scan_configINS0_14default_configEiEEPKiPiSt10multipliesIiEiiNS1_19lookback_scan_stateIiLb0ELb1EEEEEvT2_T3_mT5_T4_T7_jPT6_SK_bb
	.globl	_ZN7rocprim17ROCPRIM_304000_NS6detail20lookback_scan_kernelILNS1_25lookback_scan_determinismE0ELb0ENS1_19wrapped_scan_configINS0_14default_configEiEEPKiPiSt10multipliesIiEiiNS1_19lookback_scan_stateIiLb0ELb1EEEEEvT2_T3_mT5_T4_T7_jPT6_SK_bb
	.p2align	8
	.type	_ZN7rocprim17ROCPRIM_304000_NS6detail20lookback_scan_kernelILNS1_25lookback_scan_determinismE0ELb0ENS1_19wrapped_scan_configINS0_14default_configEiEEPKiPiSt10multipliesIiEiiNS1_19lookback_scan_stateIiLb0ELb1EEEEEvT2_T3_mT5_T4_T7_jPT6_SK_bb,@function
_ZN7rocprim17ROCPRIM_304000_NS6detail20lookback_scan_kernelILNS1_25lookback_scan_determinismE0ELb0ENS1_19wrapped_scan_configINS0_14default_configEiEEPKiPiSt10multipliesIiEiiNS1_19lookback_scan_stateIiLb0ELb1EEEEEvT2_T3_mT5_T4_T7_jPT6_SK_bb: ; @_ZN7rocprim17ROCPRIM_304000_NS6detail20lookback_scan_kernelILNS1_25lookback_scan_determinismE0ELb0ENS1_19wrapped_scan_configINS0_14default_configEiEEPKiPiSt10multipliesIiEiiNS1_19lookback_scan_stateIiLb0ELb1EEEEEvT2_T3_mT5_T4_T7_jPT6_SK_bb
; %bb.0:
	s_clause 0x2
	s_load_b32 s10, s[0:1], 0x28
	s_load_b64 s[2:3], s[0:1], 0x10
	s_load_b128 s[4:7], s[0:1], 0x0
	s_lshl_b32 s8, s15, 10
	s_mov_b32 s9, 0
	v_lshlrev_b32_e32 v48, 2, v0
	v_lshrrev_b32_e32 v19, 3, v0
	v_or_b32_e32 v47, 64, v0
	v_or_b32_e32 v46, 0x80, v0
	;; [unrolled: 1-line block ×13, first 2 shown]
	s_waitcnt lgkmcnt(0)
	s_add_i32 s10, s10, -1
	v_or_b32_e32 v34, 0x380, v0
	s_lshl_b32 s11, s10, 10
	v_or_b32_e32 v33, 0x3c0, v0
	s_sub_u32 s14, s2, s11
	s_subb_u32 s33, s3, 0
	s_cmp_lg_u32 s15, s10
	s_mov_b32 s3, -1
	s_cselect_b32 s34, -1, 0
	s_lshl_b64 s[12:13], s[8:9], 2
	s_delay_alu instid0(SALU_CYCLE_1)
	s_add_u32 s4, s4, s12
	s_addc_u32 s5, s5, s13
	s_and_b32 vcc_lo, exec_lo, s34
	s_cbranch_vccz .LBB21_2
; %bb.1:
	s_clause 0xf
	global_load_b32 v1, v48, s[4:5]
	global_load_b32 v2, v48, s[4:5] offset:256
	global_load_b32 v3, v48, s[4:5] offset:512
	;; [unrolled: 1-line block ×15, first 2 shown]
	v_lshrrev_b32_e32 v18, 3, v47
	v_lshrrev_b32_e32 v20, 3, v46
	v_lshrrev_b32_e32 v21, 3, v45
	v_lshrrev_b32_e32 v22, 3, v44
	v_and_b32_e32 v17, 4, v19
	v_lshrrev_b32_e32 v23, 3, v43
	v_lshrrev_b32_e32 v24, 3, v42
	;; [unrolled: 1-line block ×11, first 2 shown]
	v_and_b32_e32 v18, 12, v18
	v_and_b32_e32 v20, 20, v20
	;; [unrolled: 1-line block ×4, first 2 shown]
	v_add_nc_u32_e32 v17, v17, v48
	v_and_b32_e32 v23, 44, v23
	v_and_b32_e32 v24, 52, v24
	;; [unrolled: 1-line block ×11, first 2 shown]
	v_add_nc_u32_e32 v18, v18, v48
	v_add_nc_u32_e32 v20, v20, v48
	;; [unrolled: 1-line block ×4, first 2 shown]
	s_mov_b32 s3, 0
	v_add_nc_u32_e32 v23, v23, v48
	v_add_nc_u32_e32 v24, v24, v48
	;; [unrolled: 1-line block ×11, first 2 shown]
	s_waitcnt vmcnt(15)
	ds_store_b32 v17, v1
	s_waitcnt vmcnt(14)
	ds_store_b32 v18, v2 offset:256
	s_waitcnt vmcnt(13)
	ds_store_b32 v20, v3 offset:512
	;; [unrolled: 2-line block ×15, first 2 shown]
	s_waitcnt lgkmcnt(0)
	s_barrier
.LBB21_2:
	v_cmp_gt_u32_e64 s2, s14, v0
	s_and_not1_b32 vcc_lo, exec_lo, s3
	s_cbranch_vccnz .LBB21_21
; %bb.3:
	s_load_b32 s16, s[4:5], 0x0
	v_add_co_u32 v17, s3, s4, v48
	s_delay_alu instid0(VALU_DEP_1)
	v_add_co_ci_u32_e64 v18, null, s5, 0, s3
	s_waitcnt lgkmcnt(0)
	s_mov_b32 s17, s16
	s_mov_b32 s18, s16
	;; [unrolled: 1-line block ×15, first 2 shown]
	v_dual_mov_b32 v1, s16 :: v_dual_mov_b32 v2, s17
	v_dual_mov_b32 v3, s18 :: v_dual_mov_b32 v4, s19
	v_dual_mov_b32 v5, s20 :: v_dual_mov_b32 v6, s21
	v_dual_mov_b32 v7, s22 :: v_dual_mov_b32 v8, s23
	v_dual_mov_b32 v9, s24 :: v_dual_mov_b32 v10, s25
	v_dual_mov_b32 v11, s26 :: v_dual_mov_b32 v12, s27
	v_dual_mov_b32 v13, s28 :: v_dual_mov_b32 v14, s29
	v_dual_mov_b32 v15, s30 :: v_dual_mov_b32 v16, s31
	v_mov_b32_e32 v20, s16
	s_and_saveexec_b32 s3, s2
	s_cbranch_execnz .LBB21_132
; %bb.4:
	s_or_b32 exec_lo, exec_lo, s3
	s_delay_alu instid0(SALU_CYCLE_1)
	s_mov_b32 s2, exec_lo
	v_cmpx_gt_u32_e64 s14, v47
	s_cbranch_execnz .LBB21_133
.LBB21_5:
	s_or_b32 exec_lo, exec_lo, s2
	s_delay_alu instid0(SALU_CYCLE_1)
	s_mov_b32 s2, exec_lo
	v_cmpx_gt_u32_e64 s14, v46
	s_cbranch_execnz .LBB21_134
.LBB21_6:
	s_or_b32 exec_lo, exec_lo, s2
	s_delay_alu instid0(SALU_CYCLE_1)
	s_mov_b32 s2, exec_lo
	v_cmpx_gt_u32_e64 s14, v45
	s_cbranch_execnz .LBB21_135
.LBB21_7:
	s_or_b32 exec_lo, exec_lo, s2
	s_delay_alu instid0(SALU_CYCLE_1)
	s_mov_b32 s2, exec_lo
	v_cmpx_gt_u32_e64 s14, v44
	s_cbranch_execnz .LBB21_136
.LBB21_8:
	s_or_b32 exec_lo, exec_lo, s2
	s_delay_alu instid0(SALU_CYCLE_1)
	s_mov_b32 s2, exec_lo
	v_cmpx_gt_u32_e64 s14, v43
	s_cbranch_execnz .LBB21_137
.LBB21_9:
	s_or_b32 exec_lo, exec_lo, s2
	s_delay_alu instid0(SALU_CYCLE_1)
	s_mov_b32 s2, exec_lo
	v_cmpx_gt_u32_e64 s14, v42
	s_cbranch_execnz .LBB21_138
.LBB21_10:
	s_or_b32 exec_lo, exec_lo, s2
	s_delay_alu instid0(SALU_CYCLE_1)
	s_mov_b32 s2, exec_lo
	v_cmpx_gt_u32_e64 s14, v41
	s_cbranch_execnz .LBB21_139
.LBB21_11:
	s_or_b32 exec_lo, exec_lo, s2
	s_delay_alu instid0(SALU_CYCLE_1)
	s_mov_b32 s2, exec_lo
	v_cmpx_gt_u32_e64 s14, v40
	s_cbranch_execnz .LBB21_140
.LBB21_12:
	s_or_b32 exec_lo, exec_lo, s2
	s_delay_alu instid0(SALU_CYCLE_1)
	s_mov_b32 s2, exec_lo
	v_cmpx_gt_u32_e64 s14, v39
	s_cbranch_execnz .LBB21_141
.LBB21_13:
	s_or_b32 exec_lo, exec_lo, s2
	s_delay_alu instid0(SALU_CYCLE_1)
	s_mov_b32 s2, exec_lo
	v_cmpx_gt_u32_e64 s14, v38
	s_cbranch_execnz .LBB21_142
.LBB21_14:
	s_or_b32 exec_lo, exec_lo, s2
	s_delay_alu instid0(SALU_CYCLE_1)
	s_mov_b32 s2, exec_lo
	v_cmpx_gt_u32_e64 s14, v37
	s_cbranch_execnz .LBB21_143
.LBB21_15:
	s_or_b32 exec_lo, exec_lo, s2
	s_delay_alu instid0(SALU_CYCLE_1)
	s_mov_b32 s2, exec_lo
	v_cmpx_gt_u32_e64 s14, v36
	s_cbranch_execnz .LBB21_144
.LBB21_16:
	s_or_b32 exec_lo, exec_lo, s2
	s_delay_alu instid0(SALU_CYCLE_1)
	s_mov_b32 s2, exec_lo
	v_cmpx_gt_u32_e64 s14, v35
	s_cbranch_execnz .LBB21_145
.LBB21_17:
	s_or_b32 exec_lo, exec_lo, s2
	s_delay_alu instid0(SALU_CYCLE_1)
	s_mov_b32 s2, exec_lo
	v_cmpx_gt_u32_e64 s14, v34
	s_cbranch_execnz .LBB21_146
.LBB21_18:
	s_or_b32 exec_lo, exec_lo, s2
	s_delay_alu instid0(SALU_CYCLE_1)
	s_mov_b32 s2, exec_lo
	v_cmpx_gt_u32_e64 s14, v33
	s_cbranch_execz .LBB21_20
.LBB21_19:
	global_load_b32 v16, v[17:18], off offset:3840
.LBB21_20:
	s_or_b32 exec_lo, exec_lo, s2
	v_lshrrev_b32_e32 v1, 3, v47
	v_lshrrev_b32_e32 v17, 3, v46
	v_and_b32_e32 v18, 4, v19
	v_lshrrev_b32_e32 v19, 3, v45
	v_lshrrev_b32_e32 v21, 3, v44
	v_lshrrev_b32_e32 v22, 3, v43
	v_lshrrev_b32_e32 v23, 3, v42
	v_lshrrev_b32_e32 v24, 3, v41
	v_and_b32_e32 v1, 12, v1
	v_and_b32_e32 v17, 28, v17
	;; [unrolled: 1-line block ×4, first 2 shown]
	v_add_nc_u32_e32 v18, v18, v48
	v_and_b32_e32 v22, 60, v22
	v_and_b32_e32 v23, 60, v23
	;; [unrolled: 1-line block ×3, first 2 shown]
	v_add_nc_u32_e32 v1, v1, v48
	v_add_nc_u32_e32 v17, v17, v48
	v_lshrrev_b32_e32 v25, 3, v40
	v_add_nc_u32_e32 v19, v19, v48
	v_lshrrev_b32_e32 v26, 3, v39
	v_add_nc_u32_e32 v21, v21, v48
	v_lshrrev_b32_e32 v27, 3, v38
	v_add_nc_u32_e32 v22, v22, v48
	v_add_nc_u32_e32 v23, v23, v48
	;; [unrolled: 1-line block ×3, first 2 shown]
	s_waitcnt vmcnt(0)
	ds_store_b32 v18, v20
	ds_store_b32 v1, v2 offset:256
	ds_store_b32 v17, v3 offset:512
	ds_store_b32 v19, v4 offset:768
	ds_store_b32 v21, v5 offset:1024
	ds_store_b32 v22, v6 offset:1280
	ds_store_b32 v23, v7 offset:1536
	ds_store_b32 v24, v8 offset:1792
	v_lshrrev_b32_e32 v4, 3, v37
	v_lshrrev_b32_e32 v5, 3, v36
	v_and_b32_e32 v25, 0x7c, v25
	v_lshrrev_b32_e32 v6, 3, v35
	v_lshrrev_b32_e32 v7, 3, v34
	;; [unrolled: 1-line block ×3, first 2 shown]
	v_and_b32_e32 v26, 0x7c, v26
	v_and_b32_e32 v27, 0x7c, v27
	;; [unrolled: 1-line block ×4, first 2 shown]
	v_add_nc_u32_e32 v1, v25, v48
	v_and_b32_e32 v6, 0x7c, v6
	v_and_b32_e32 v7, 0x7c, v7
	;; [unrolled: 1-line block ×3, first 2 shown]
	v_add_nc_u32_e32 v2, v26, v48
	v_add_nc_u32_e32 v3, v27, v48
	;; [unrolled: 1-line block ×7, first 2 shown]
	ds_store_b32 v1, v9 offset:2048
	ds_store_b32 v2, v10 offset:2304
	;; [unrolled: 1-line block ×8, first 2 shown]
	s_waitcnt lgkmcnt(0)
	s_barrier
.LBB21_21:
	v_lshlrev_b32_e32 v1, 4, v0
	v_lshrrev_b32_e32 v50, 1, v0
	buffer_gl0_inv
	s_load_b64 s[4:5], s[0:1], 0x20
	v_lshrrev_b32_e32 v49, 5, v0
	v_cmp_gt_u32_e32 vcc_lo, 32, v0
	v_add_lshl_u32 v1, v50, v1, 2
	s_cmp_lg_u32 s15, 0
	ds_load_2addr_b32 v[29:30], v1 offset1:1
	ds_load_2addr_b32 v[31:32], v1 offset0:2 offset1:3
	ds_load_2addr_b32 v[27:28], v1 offset0:4 offset1:5
	;; [unrolled: 1-line block ×7, first 2 shown]
	s_waitcnt lgkmcnt(0)
	s_barrier
	buffer_gl0_inv
	s_cbranch_scc0 .LBB21_46
; %bb.22:
	v_mul_lo_u32 v1, v30, v29
	v_add_lshl_u32 v2, v49, v0, 2
	s_delay_alu instid0(VALU_DEP_2) | instskip(NEXT) | instid1(VALU_DEP_1)
	v_mul_lo_u32 v1, v1, v31
	v_mul_lo_u32 v1, v1, v32
	s_delay_alu instid0(VALU_DEP_1) | instskip(NEXT) | instid1(VALU_DEP_1)
	v_mul_lo_u32 v1, v1, v27
	v_mul_lo_u32 v1, v1, v28
	s_delay_alu instid0(VALU_DEP_1) | instskip(NEXT) | instid1(VALU_DEP_1)
	v_mul_lo_u32 v1, v1, v25
	v_mul_lo_u32 v1, v1, v26
	s_delay_alu instid0(VALU_DEP_1) | instskip(NEXT) | instid1(VALU_DEP_1)
	v_mul_lo_u32 v1, v1, v23
	v_mul_lo_u32 v1, v1, v24
	s_delay_alu instid0(VALU_DEP_1) | instskip(NEXT) | instid1(VALU_DEP_1)
	v_mul_lo_u32 v1, v1, v21
	v_mul_lo_u32 v1, v1, v22
	s_delay_alu instid0(VALU_DEP_1) | instskip(NEXT) | instid1(VALU_DEP_1)
	v_mul_lo_u32 v1, v1, v19
	v_mul_lo_u32 v1, v1, v20
	s_delay_alu instid0(VALU_DEP_1) | instskip(NEXT) | instid1(VALU_DEP_1)
	v_mul_lo_u32 v1, v1, v17
	v_mul_lo_u32 v1, v1, v18
	ds_store_b32 v2, v1
	s_waitcnt lgkmcnt(0)
	s_barrier
	buffer_gl0_inv
	s_and_saveexec_b32 s3, vcc_lo
	s_cbranch_execz .LBB21_24
; %bb.23:
	v_lshrrev_b32_e32 v2, 2, v0
	v_mbcnt_lo_u32_b32 v6, -1, 0
	s_delay_alu instid0(VALU_DEP_2) | instskip(NEXT) | instid1(VALU_DEP_2)
	v_and_b32_e32 v2, 12, v2
	v_and_b32_e32 v7, 15, v6
	v_add_nc_u32_e32 v9, -1, v6
	s_delay_alu instid0(VALU_DEP_3) | instskip(NEXT) | instid1(VALU_DEP_3)
	v_lshl_or_b32 v4, v0, 3, v2
	v_cmp_ne_u32_e64 s2, 0, v7
	ds_load_2addr_b32 v[2:3], v4 offset1:1
	s_waitcnt lgkmcnt(0)
	v_mul_lo_u32 v5, v3, v2
	s_delay_alu instid0(VALU_DEP_1) | instskip(NEXT) | instid1(VALU_DEP_1)
	v_mov_b32_dpp v8, v5 row_shr:1 row_mask:0xf bank_mask:0xf
	v_cndmask_b32_e64 v8, 1, v8, s2
	v_cmp_lt_u32_e64 s2, 1, v7
	s_delay_alu instid0(VALU_DEP_2) | instskip(NEXT) | instid1(VALU_DEP_1)
	v_mul_lo_u32 v5, v8, v5
	v_mov_b32_dpp v8, v5 row_shr:2 row_mask:0xf bank_mask:0xf
	s_delay_alu instid0(VALU_DEP_1) | instskip(SKIP_1) | instid1(VALU_DEP_2)
	v_cndmask_b32_e64 v8, 1, v8, s2
	v_cmp_lt_u32_e64 s2, 3, v7
	v_mul_lo_u32 v5, v5, v8
	s_delay_alu instid0(VALU_DEP_1) | instskip(NEXT) | instid1(VALU_DEP_1)
	v_mov_b32_dpp v8, v5 row_shr:4 row_mask:0xf bank_mask:0xf
	v_cndmask_b32_e64 v8, 1, v8, s2
	v_cmp_lt_u32_e64 s2, 7, v7
	s_delay_alu instid0(VALU_DEP_2) | instskip(NEXT) | instid1(VALU_DEP_1)
	v_mul_lo_u32 v5, v5, v8
	v_mov_b32_dpp v8, v5 row_shr:8 row_mask:0xf bank_mask:0xf
	s_delay_alu instid0(VALU_DEP_1) | instskip(SKIP_1) | instid1(VALU_DEP_2)
	v_cndmask_b32_e64 v7, 1, v8, s2
	v_and_b32_e32 v8, 16, v6
	v_mul_lo_u32 v5, v5, v7
	s_delay_alu instid0(VALU_DEP_2) | instskip(SKIP_4) | instid1(VALU_DEP_2)
	v_cmp_ne_u32_e64 s2, 0, v8
	ds_swizzle_b32 v7, v5 offset:swizzle(BROADCAST,32,15)
	s_waitcnt lgkmcnt(0)
	v_cndmask_b32_e64 v7, 1, v7, s2
	v_cmp_gt_i32_e64 s2, 0, v9
	v_mul_lo_u32 v5, v5, v7
	s_delay_alu instid0(VALU_DEP_2) | instskip(SKIP_1) | instid1(VALU_DEP_2)
	v_cndmask_b32_e64 v6, v9, v6, s2
	v_cmp_eq_u32_e64 s2, 0, v0
	v_lshlrev_b32_e32 v6, 2, v6
	ds_bpermute_b32 v5, v6, v5
	s_waitcnt lgkmcnt(0)
	v_mul_lo_u32 v2, v5, v2
	s_delay_alu instid0(VALU_DEP_1) | instskip(NEXT) | instid1(VALU_DEP_1)
	v_cndmask_b32_e64 v1, v2, v1, s2
	v_mul_lo_u32 v2, v1, v3
	ds_store_2addr_b32 v4, v1, v2 offset1:1
.LBB21_24:
	s_or_b32 exec_lo, exec_lo, s3
	v_cmp_eq_u32_e64 s2, 0, v0
	v_mov_b32_e32 v8, 1
	s_mov_b32 s8, exec_lo
	s_waitcnt lgkmcnt(0)
	s_barrier
	buffer_gl0_inv
	v_cmpx_ne_u32_e32 0, v0
	s_cbranch_execz .LBB21_26
; %bb.25:
	v_add_nc_u32_e32 v1, -1, v0
	s_delay_alu instid0(VALU_DEP_1) | instskip(NEXT) | instid1(VALU_DEP_1)
	v_lshrrev_b32_e32 v2, 5, v1
	v_add_lshl_u32 v1, v2, v1, 2
	ds_load_b32 v8, v1
.LBB21_26:
	s_or_b32 exec_lo, exec_lo, s8
	s_and_saveexec_b32 s10, vcc_lo
	s_cbranch_execz .LBB21_45
; %bb.27:
	v_mov_b32_e32 v4, 0
	v_mbcnt_lo_u32_b32 v16, -1, 0
	ds_load_b32 v1, v4 offset:256
	v_cmp_eq_u32_e64 s3, 0, v16
	s_delay_alu instid0(VALU_DEP_1)
	s_and_saveexec_b32 s11, s3
	s_cbranch_execz .LBB21_29
; %bb.28:
	s_add_i32 s8, s15, 32
	v_mov_b32_e32 v2, 1
	s_lshl_b64 s[8:9], s[8:9], 3
	s_delay_alu instid0(SALU_CYCLE_1)
	s_add_u32 s8, s4, s8
	s_addc_u32 s9, s5, s9
	s_waitcnt lgkmcnt(0)
	global_store_b64 v4, v[1:2], s[8:9]
.LBB21_29:
	s_or_b32 exec_lo, exec_lo, s11
	v_xad_u32 v2, v16, -1, s15
	s_mov_b32 s8, exec_lo
	s_delay_alu instid0(VALU_DEP_1) | instskip(NEXT) | instid1(VALU_DEP_1)
	v_add_nc_u32_e32 v3, 32, v2
	v_lshlrev_b64 v[3:4], 3, v[3:4]
	s_delay_alu instid0(VALU_DEP_1) | instskip(NEXT) | instid1(VALU_DEP_2)
	v_add_co_u32 v6, vcc_lo, s4, v3
	v_add_co_ci_u32_e32 v7, vcc_lo, s5, v4, vcc_lo
	global_load_b64 v[4:5], v[6:7], off glc
	s_waitcnt vmcnt(0)
	v_and_b32_e32 v3, 0xff, v5
	s_delay_alu instid0(VALU_DEP_1)
	v_cmpx_eq_u16_e32 0, v3
	s_cbranch_execz .LBB21_33
; %bb.30:
	s_mov_b32 s9, 0
.LBB21_31:                              ; =>This Inner Loop Header: Depth=1
	global_load_b64 v[4:5], v[6:7], off glc
	s_waitcnt vmcnt(0)
	v_and_b32_e32 v3, 0xff, v5
	s_delay_alu instid0(VALU_DEP_1) | instskip(SKIP_1) | instid1(SALU_CYCLE_1)
	v_cmp_ne_u16_e32 vcc_lo, 0, v3
	s_or_b32 s9, vcc_lo, s9
	s_and_not1_b32 exec_lo, exec_lo, s9
	s_cbranch_execnz .LBB21_31
; %bb.32:
	s_or_b32 exec_lo, exec_lo, s9
.LBB21_33:
	s_delay_alu instid0(SALU_CYCLE_1)
	s_or_b32 exec_lo, exec_lo, s8
	v_cmp_ne_u32_e32 vcc_lo, 31, v16
	v_lshlrev_b32_e64 v10, v16, -1
	v_add_nc_u32_e32 v11, 1, v16
	v_add_nc_u32_e32 v13, 2, v16
	;; [unrolled: 1-line block ×3, first 2 shown]
	v_add_co_ci_u32_e32 v3, vcc_lo, 0, v16, vcc_lo
	v_add_nc_u32_e32 v52, 8, v16
	v_add_nc_u32_e32 v54, 16, v16
	s_delay_alu instid0(VALU_DEP_3)
	v_lshlrev_b32_e32 v9, 2, v3
	v_and_b32_e32 v3, 0xff, v5
	ds_bpermute_b32 v6, v9, v4
	v_cmp_eq_u16_e32 vcc_lo, 2, v3
	v_and_or_b32 v3, vcc_lo, v10, 0x80000000
	v_cmp_gt_u32_e32 vcc_lo, 30, v16
	s_delay_alu instid0(VALU_DEP_2) | instskip(SKIP_1) | instid1(VALU_DEP_2)
	v_ctz_i32_b32_e32 v3, v3
	v_cndmask_b32_e64 v7, 0, 1, vcc_lo
	v_cmp_le_u32_e32 vcc_lo, v11, v3
	s_waitcnt lgkmcnt(0)
	s_delay_alu instid0(VALU_DEP_2) | instskip(NEXT) | instid1(VALU_DEP_1)
	v_dual_cndmask_b32 v6, 1, v6 :: v_dual_lshlrev_b32 v7, 1, v7
	v_add_lshl_u32 v12, v7, v16, 2
	v_cmp_gt_u32_e32 vcc_lo, 28, v16
	s_delay_alu instid0(VALU_DEP_3) | instskip(SKIP_2) | instid1(VALU_DEP_2)
	v_mul_lo_u32 v4, v6, v4
	v_cndmask_b32_e64 v7, 0, 1, vcc_lo
	v_cmp_le_u32_e32 vcc_lo, v13, v3
	v_lshlrev_b32_e32 v7, 2, v7
	ds_bpermute_b32 v6, v12, v4
	v_add_lshl_u32 v14, v7, v16, 2
	s_waitcnt lgkmcnt(0)
	v_cndmask_b32_e32 v6, 1, v6, vcc_lo
	v_cmp_gt_u32_e32 vcc_lo, 24, v16
	s_delay_alu instid0(VALU_DEP_2) | instskip(SKIP_2) | instid1(VALU_DEP_2)
	v_mul_lo_u32 v4, v4, v6
	v_cndmask_b32_e64 v7, 0, 1, vcc_lo
	v_cmp_le_u32_e32 vcc_lo, v15, v3
	v_lshlrev_b32_e32 v7, 3, v7
	ds_bpermute_b32 v6, v14, v4
	v_add_lshl_u32 v51, v7, v16, 2
	s_waitcnt lgkmcnt(0)
	v_cndmask_b32_e32 v6, 1, v6, vcc_lo
	v_cmp_gt_u32_e32 vcc_lo, 16, v16
	s_delay_alu instid0(VALU_DEP_2) | instskip(SKIP_2) | instid1(VALU_DEP_2)
	v_mul_lo_u32 v4, v4, v6
	v_cndmask_b32_e64 v7, 0, 1, vcc_lo
	v_cmp_le_u32_e32 vcc_lo, v52, v3
	v_lshlrev_b32_e32 v7, 4, v7
	ds_bpermute_b32 v6, v51, v4
	v_add_lshl_u32 v53, v7, v16, 2
	s_waitcnt lgkmcnt(0)
	v_cndmask_b32_e32 v6, 1, v6, vcc_lo
	v_cmp_le_u32_e32 vcc_lo, v54, v3
	s_delay_alu instid0(VALU_DEP_2) | instskip(SKIP_3) | instid1(VALU_DEP_1)
	v_mul_lo_u32 v4, v4, v6
	ds_bpermute_b32 v6, v53, v4
	s_waitcnt lgkmcnt(0)
	v_cndmask_b32_e32 v3, 1, v6, vcc_lo
	v_mul_lo_u32 v4, v4, v3
	v_mov_b32_e32 v3, 0
	s_branch .LBB21_35
.LBB21_34:                              ;   in Loop: Header=BB21_35 Depth=1
	s_or_b32 exec_lo, exec_lo, s8
	ds_bpermute_b32 v7, v9, v4
	v_and_b32_e32 v6, 0xff, v5
	v_subrev_nc_u32_e32 v2, 32, v2
	s_delay_alu instid0(VALU_DEP_2) | instskip(SKIP_1) | instid1(VALU_DEP_1)
	v_cmp_eq_u16_e32 vcc_lo, 2, v6
	v_and_or_b32 v6, vcc_lo, v10, 0x80000000
	v_ctz_i32_b32_e32 v6, v6
	s_delay_alu instid0(VALU_DEP_1) | instskip(SKIP_3) | instid1(VALU_DEP_2)
	v_cmp_le_u32_e32 vcc_lo, v11, v6
	s_waitcnt lgkmcnt(0)
	v_cndmask_b32_e32 v7, 1, v7, vcc_lo
	v_cmp_le_u32_e32 vcc_lo, v13, v6
	v_mul_lo_u32 v4, v7, v4
	ds_bpermute_b32 v7, v12, v4
	s_waitcnt lgkmcnt(0)
	v_cndmask_b32_e32 v7, 1, v7, vcc_lo
	v_cmp_le_u32_e32 vcc_lo, v15, v6
	s_delay_alu instid0(VALU_DEP_2) | instskip(SKIP_4) | instid1(VALU_DEP_2)
	v_mul_lo_u32 v4, v4, v7
	ds_bpermute_b32 v7, v14, v4
	s_waitcnt lgkmcnt(0)
	v_cndmask_b32_e32 v7, 1, v7, vcc_lo
	v_cmp_le_u32_e32 vcc_lo, v52, v6
	v_mul_lo_u32 v4, v4, v7
	ds_bpermute_b32 v7, v51, v4
	s_waitcnt lgkmcnt(0)
	v_cndmask_b32_e32 v7, 1, v7, vcc_lo
	v_cmp_le_u32_e32 vcc_lo, v54, v6
	s_delay_alu instid0(VALU_DEP_2) | instskip(SKIP_3) | instid1(VALU_DEP_1)
	v_mul_lo_u32 v4, v4, v7
	ds_bpermute_b32 v7, v53, v4
	s_waitcnt lgkmcnt(0)
	v_cndmask_b32_e32 v6, 1, v7, vcc_lo
	v_mul_lo_u32 v6, v6, v16
	s_delay_alu instid0(VALU_DEP_1)
	v_mul_lo_u32 v4, v6, v4
.LBB21_35:                              ; =>This Loop Header: Depth=1
                                        ;     Child Loop BB21_38 Depth 2
	s_delay_alu instid0(VALU_DEP_1) | instskip(NEXT) | instid1(VALU_DEP_1)
	v_dual_mov_b32 v16, v4 :: v_dual_and_b32 v5, 0xff, v5
	v_cmp_ne_u16_e32 vcc_lo, 2, v5
	v_cndmask_b32_e64 v5, 0, 1, vcc_lo
	;;#ASMSTART
	;;#ASMEND
	s_delay_alu instid0(VALU_DEP_1)
	v_cmp_ne_u32_e32 vcc_lo, 0, v5
	s_cmp_lg_u32 vcc_lo, exec_lo
	s_cbranch_scc1 .LBB21_40
; %bb.36:                               ;   in Loop: Header=BB21_35 Depth=1
	v_lshlrev_b64 v[4:5], 3, v[2:3]
	s_mov_b32 s8, exec_lo
	s_delay_alu instid0(VALU_DEP_1) | instskip(NEXT) | instid1(VALU_DEP_2)
	v_add_co_u32 v6, vcc_lo, s4, v4
	v_add_co_ci_u32_e32 v7, vcc_lo, s5, v5, vcc_lo
	global_load_b64 v[4:5], v[6:7], off glc
	s_waitcnt vmcnt(0)
	v_and_b32_e32 v55, 0xff, v5
	s_delay_alu instid0(VALU_DEP_1)
	v_cmpx_eq_u16_e32 0, v55
	s_cbranch_execz .LBB21_34
; %bb.37:                               ;   in Loop: Header=BB21_35 Depth=1
	s_mov_b32 s9, 0
.LBB21_38:                              ;   Parent Loop BB21_35 Depth=1
                                        ; =>  This Inner Loop Header: Depth=2
	global_load_b64 v[4:5], v[6:7], off glc
	s_waitcnt vmcnt(0)
	v_and_b32_e32 v55, 0xff, v5
	s_delay_alu instid0(VALU_DEP_1) | instskip(SKIP_1) | instid1(SALU_CYCLE_1)
	v_cmp_ne_u16_e32 vcc_lo, 0, v55
	s_or_b32 s9, vcc_lo, s9
	s_and_not1_b32 exec_lo, exec_lo, s9
	s_cbranch_execnz .LBB21_38
; %bb.39:                               ;   in Loop: Header=BB21_35 Depth=1
	s_or_b32 exec_lo, exec_lo, s9
	s_branch .LBB21_34
.LBB21_40:                              ;   in Loop: Header=BB21_35 Depth=1
                                        ; implicit-def: $vgpr4
                                        ; implicit-def: $vgpr5
	s_cbranch_execz .LBB21_35
; %bb.41:
	s_and_saveexec_b32 s8, s3
	s_cbranch_execz .LBB21_43
; %bb.42:
	v_mul_lo_u32 v1, v16, v1
	s_add_i32 s16, s15, 32
	s_mov_b32 s17, 0
	v_dual_mov_b32 v3, 0 :: v_dual_mov_b32 v2, 2
	s_lshl_b64 s[16:17], s[16:17], 3
	s_delay_alu instid0(SALU_CYCLE_1)
	s_add_u32 s16, s4, s16
	s_addc_u32 s17, s5, s17
	global_store_b64 v3, v[1:2], s[16:17]
.LBB21_43:
	s_or_b32 exec_lo, exec_lo, s8
	s_delay_alu instid0(SALU_CYCLE_1)
	s_and_b32 exec_lo, exec_lo, s2
	s_cbranch_execz .LBB21_45
; %bb.44:
	v_mov_b32_e32 v1, 0
	ds_store_b32 v1, v16
.LBB21_45:
	s_or_b32 exec_lo, exec_lo, s10
	v_mov_b32_e32 v1, 0
	s_waitcnt lgkmcnt(0)
	s_waitcnt_vscnt null, 0x0
	s_barrier
	buffer_gl0_inv
	v_mul_lo_u32 v2, v8, v29
	ds_load_b32 v1, v1
	s_waitcnt lgkmcnt(0)
	v_mul_lo_u32 v1, v2, v1
	s_delay_alu instid0(VALU_DEP_1) | instskip(NEXT) | instid1(VALU_DEP_1)
	v_mul_lo_u32 v2, v1, v30
	v_mul_lo_u32 v3, v2, v31
	s_delay_alu instid0(VALU_DEP_1) | instskip(NEXT) | instid1(VALU_DEP_1)
	v_mul_lo_u32 v4, v3, v32
	;; [unrolled: 3-line block ×7, first 2 shown]
	v_mul_lo_u32 v15, v14, v17
	s_delay_alu instid0(VALU_DEP_1)
	v_mul_lo_u32 v16, v15, v18
	s_load_b128 s[8:11], s[0:1], 0x30
	s_branch .LBB21_56
.LBB21_46:
                                        ; implicit-def: $vgpr1_vgpr2_vgpr3_vgpr4_vgpr5_vgpr6_vgpr7_vgpr8_vgpr9_vgpr10_vgpr11_vgpr12_vgpr13_vgpr14_vgpr15_vgpr16
	s_load_b128 s[8:11], s[0:1], 0x30
	s_cbranch_execz .LBB21_56
; %bb.47:
	s_load_b32 s2, s[0:1], 0x40
	v_cmp_eq_u32_e32 vcc_lo, 0, v0
	s_waitcnt lgkmcnt(0)
	s_bitcmp1_b32 s2, 0
	v_cmp_ne_u32_e64 s2, 0, v0
	s_cselect_b32 s3, -1, 0
	s_delay_alu instid0(SALU_CYCLE_1) | instskip(NEXT) | instid1(SALU_CYCLE_1)
	s_and_b32 s15, vcc_lo, s3
	s_and_saveexec_b32 s3, s15
	s_cbranch_execz .LBB21_49
; %bb.48:
	s_load_b32 s8, s[8:9], 0x0
	s_waitcnt lgkmcnt(0)
	v_mul_lo_u32 v29, s8, v29
.LBB21_49:
	s_or_b32 exec_lo, exec_lo, s3
	s_delay_alu instid0(VALU_DEP_1) | instskip(SKIP_2) | instid1(VALU_DEP_2)
	v_mul_lo_u32 v1, v30, v29
	v_add_lshl_u32 v2, v49, v0, 2
	s_mov_b32 s8, exec_lo
	v_mul_lo_u32 v1, v1, v31
	s_delay_alu instid0(VALU_DEP_1) | instskip(NEXT) | instid1(VALU_DEP_1)
	v_mul_lo_u32 v1, v1, v32
	v_mul_lo_u32 v1, v1, v27
	s_delay_alu instid0(VALU_DEP_1) | instskip(NEXT) | instid1(VALU_DEP_1)
	v_mul_lo_u32 v1, v1, v28
	;; [unrolled: 3-line block ×6, first 2 shown]
	v_mul_lo_u32 v1, v1, v17
	s_delay_alu instid0(VALU_DEP_1)
	v_mul_lo_u32 v1, v1, v18
	ds_store_b32 v2, v1
	s_waitcnt lgkmcnt(0)
	s_barrier
	buffer_gl0_inv
	v_cmpx_gt_u32_e32 32, v0
	s_cbranch_execz .LBB21_51
; %bb.50:
	v_lshrrev_b32_e32 v2, 2, v0
	v_mbcnt_lo_u32_b32 v6, -1, 0
	s_delay_alu instid0(VALU_DEP_2) | instskip(NEXT) | instid1(VALU_DEP_2)
	v_and_b32_e32 v2, 12, v2
	v_and_b32_e32 v7, 15, v6
	v_add_nc_u32_e32 v9, -1, v6
	s_delay_alu instid0(VALU_DEP_3) | instskip(NEXT) | instid1(VALU_DEP_3)
	v_lshl_or_b32 v4, v0, 3, v2
	v_cmp_ne_u32_e64 s3, 0, v7
	ds_load_2addr_b32 v[2:3], v4 offset1:1
	s_waitcnt lgkmcnt(0)
	v_mul_lo_u32 v5, v3, v2
	s_delay_alu instid0(VALU_DEP_1) | instskip(NEXT) | instid1(VALU_DEP_1)
	v_mov_b32_dpp v8, v5 row_shr:1 row_mask:0xf bank_mask:0xf
	v_cndmask_b32_e64 v8, 1, v8, s3
	v_cmp_lt_u32_e64 s3, 1, v7
	s_delay_alu instid0(VALU_DEP_2) | instskip(NEXT) | instid1(VALU_DEP_1)
	v_mul_lo_u32 v5, v8, v5
	v_mov_b32_dpp v8, v5 row_shr:2 row_mask:0xf bank_mask:0xf
	s_delay_alu instid0(VALU_DEP_1) | instskip(SKIP_1) | instid1(VALU_DEP_2)
	v_cndmask_b32_e64 v8, 1, v8, s3
	v_cmp_lt_u32_e64 s3, 3, v7
	v_mul_lo_u32 v5, v5, v8
	s_delay_alu instid0(VALU_DEP_1) | instskip(NEXT) | instid1(VALU_DEP_1)
	v_mov_b32_dpp v8, v5 row_shr:4 row_mask:0xf bank_mask:0xf
	v_cndmask_b32_e64 v8, 1, v8, s3
	v_cmp_lt_u32_e64 s3, 7, v7
	s_delay_alu instid0(VALU_DEP_2) | instskip(NEXT) | instid1(VALU_DEP_1)
	v_mul_lo_u32 v5, v5, v8
	v_mov_b32_dpp v8, v5 row_shr:8 row_mask:0xf bank_mask:0xf
	s_delay_alu instid0(VALU_DEP_1) | instskip(SKIP_1) | instid1(VALU_DEP_2)
	v_cndmask_b32_e64 v7, 1, v8, s3
	v_and_b32_e32 v8, 16, v6
	v_mul_lo_u32 v5, v5, v7
	s_delay_alu instid0(VALU_DEP_2) | instskip(SKIP_4) | instid1(VALU_DEP_2)
	v_cmp_ne_u32_e64 s3, 0, v8
	ds_swizzle_b32 v7, v5 offset:swizzle(BROADCAST,32,15)
	s_waitcnt lgkmcnt(0)
	v_cndmask_b32_e64 v7, 1, v7, s3
	v_cmp_gt_i32_e64 s3, 0, v9
	v_mul_lo_u32 v5, v5, v7
	s_delay_alu instid0(VALU_DEP_2) | instskip(NEXT) | instid1(VALU_DEP_1)
	v_cndmask_b32_e64 v6, v9, v6, s3
	v_lshlrev_b32_e32 v6, 2, v6
	ds_bpermute_b32 v5, v6, v5
	s_waitcnt lgkmcnt(0)
	v_mul_lo_u32 v2, v5, v2
	s_delay_alu instid0(VALU_DEP_1) | instskip(NEXT) | instid1(VALU_DEP_1)
	v_cndmask_b32_e32 v1, v2, v1, vcc_lo
	v_mul_lo_u32 v2, v1, v3
	ds_store_2addr_b32 v4, v1, v2 offset1:1
.LBB21_51:
	s_or_b32 exec_lo, exec_lo, s8
	v_mov_b32_e32 v1, 1
	s_waitcnt lgkmcnt(0)
	s_barrier
	buffer_gl0_inv
	s_and_saveexec_b32 s3, s2
	s_cbranch_execz .LBB21_53
; %bb.52:
	v_add_nc_u32_e32 v1, -1, v0
	s_delay_alu instid0(VALU_DEP_1) | instskip(NEXT) | instid1(VALU_DEP_1)
	v_lshrrev_b32_e32 v2, 5, v1
	v_add_lshl_u32 v1, v2, v1, 2
	ds_load_b32 v1, v1
.LBB21_53:
	s_or_b32 exec_lo, exec_lo, s3
	s_waitcnt lgkmcnt(0)
	v_mul_lo_u32 v1, v1, v29
	s_delay_alu instid0(VALU_DEP_1) | instskip(NEXT) | instid1(VALU_DEP_1)
	v_mul_lo_u32 v2, v1, v30
	v_mul_lo_u32 v3, v2, v31
	s_delay_alu instid0(VALU_DEP_1) | instskip(NEXT) | instid1(VALU_DEP_1)
	v_mul_lo_u32 v4, v3, v32
	;; [unrolled: 3-line block ×7, first 2 shown]
	v_mul_lo_u32 v15, v14, v17
	s_delay_alu instid0(VALU_DEP_1)
	v_mul_lo_u32 v16, v15, v18
	s_and_saveexec_b32 s2, vcc_lo
	s_cbranch_execz .LBB21_55
; %bb.54:
	v_dual_mov_b32 v19, 0 :: v_dual_mov_b32 v18, 2
	ds_load_b32 v17, v19 offset:256
	s_waitcnt lgkmcnt(0)
	global_store_b64 v19, v[17:18], s[4:5] offset:256
.LBB21_55:
	s_or_b32 exec_lo, exec_lo, s2
.LBB21_56:
	v_lshlrev_b32_e32 v17, 6, v0
	s_add_u32 s2, s6, s12
	s_addc_u32 s3, s7, s13
	s_and_b32 vcc_lo, exec_lo, s34
	s_mov_b32 s4, -1
	s_waitcnt lgkmcnt(0)
	s_waitcnt_vscnt null, 0x0
	s_barrier
	buffer_gl0_inv
	s_cbranch_vccz .LBB21_58
; %bb.57:
	v_lshl_add_u32 v18, v50, 2, v17
	v_lshrrev_b32_e32 v26, 5, v40
	v_lshrrev_b32_e32 v27, 5, v39
	;; [unrolled: 1-line block ×4, first 2 shown]
	ds_store_2addr_b32 v18, v1, v2 offset1:1
	ds_store_2addr_b32 v18, v3, v4 offset0:2 offset1:3
	ds_store_2addr_b32 v18, v5, v6 offset0:4 offset1:5
	;; [unrolled: 1-line block ×7, first 2 shown]
	v_lshrrev_b32_e32 v18, 5, v47
	v_lshrrev_b32_e32 v21, 5, v45
	;; [unrolled: 1-line block ×11, first 2 shown]
	v_add_lshl_u32 v20, v49, v0, 2
	v_add_lshl_u32 v26, v26, v0, 2
	;; [unrolled: 1-line block ×16, first 2 shown]
	s_waitcnt lgkmcnt(0)
	s_barrier
	buffer_gl0_inv
	ds_load_b32 v20, v20
	ds_load_b32 v18, v18 offset:256
	ds_load_b32 v19, v19 offset:512
	;; [unrolled: 1-line block ×15, first 2 shown]
	s_waitcnt lgkmcnt(15)
	global_store_b32 v48, v20, s[2:3]
	s_waitcnt lgkmcnt(14)
	global_store_b32 v48, v18, s[2:3] offset:256
	s_waitcnt lgkmcnt(13)
	global_store_b32 v48, v19, s[2:3] offset:512
	;; [unrolled: 2-line block ×7, first 2 shown]
	s_mov_b32 s4, 0
	s_waitcnt lgkmcnt(7)
	global_store_b32 v48, v26, s[2:3] offset:2048
	s_waitcnt lgkmcnt(6)
	global_store_b32 v48, v27, s[2:3] offset:2304
	;; [unrolled: 2-line block ×8, first 2 shown]
.LBB21_58:
	s_and_not1_b32 vcc_lo, exec_lo, s4
	s_cbranch_vccnz .LBB21_131
; %bb.59:
	v_lshl_add_u32 v17, v50, 2, v17
	ds_store_2addr_b32 v17, v1, v2 offset1:1
	ds_store_2addr_b32 v17, v3, v4 offset0:2 offset1:3
	ds_store_2addr_b32 v17, v5, v6 offset0:4 offset1:5
	;; [unrolled: 1-line block ×7, first 2 shown]
	v_lshrrev_b32_e32 v1, 5, v47
	v_lshrrev_b32_e32 v2, 5, v46
	;; [unrolled: 1-line block ×6, first 2 shown]
	v_add_lshl_u32 v3, v49, v0, 2
	v_lshrrev_b32_e32 v8, 5, v41
	v_add_lshl_u32 v1, v1, v0, 2
	v_lshrrev_b32_e32 v14, 5, v40
	;; [unrolled: 2-line block ×3, first 2 shown]
	v_lshrrev_b32_e32 v16, 5, v38
	v_add_lshl_u32 v9, v4, v0, 2
	v_add_lshl_u32 v10, v5, v0, 2
	v_add_lshl_u32 v11, v6, v0, 2
	v_add_lshl_u32 v12, v7, v0, 2
	s_waitcnt lgkmcnt(0)
	s_waitcnt_vscnt null, 0x0
	s_barrier
	buffer_gl0_inv
	v_add_lshl_u32 v13, v8, v0, 2
	ds_load_b32 v5, v3
	ds_load_b32 v4, v1 offset:256
	ds_load_b32 v6, v2 offset:512
	;; [unrolled: 1-line block ×7, first 2 shown]
	v_lshrrev_b32_e32 v12, 5, v37
	v_add_lshl_u32 v1, v14, v0, 2
	v_lshrrev_b32_e32 v13, 5, v36
	v_lshrrev_b32_e32 v14, 5, v35
	v_add_lshl_u32 v2, v15, v0, 2
	v_add_lshl_u32 v3, v16, v0, 2
	v_lshrrev_b32_e32 v15, 5, v34
	v_lshrrev_b32_e32 v16, 5, v33
	v_add_lshl_u32 v17, v12, v0, 2
	v_add_lshl_u32 v18, v13, v0, 2
	;; [unrolled: 1-line block ×5, first 2 shown]
	ds_load_b32 v12, v1 offset:2048
	ds_load_b32 v13, v2 offset:2304
	ds_load_b32 v14, v3 offset:2560
	ds_load_b32 v15, v17 offset:2816
	ds_load_b32 v16, v18 offset:3072
	ds_load_b32 v17, v19 offset:3328
	ds_load_b32 v18, v20 offset:3584
	ds_load_b32 v19, v21 offset:3840
	v_add_co_u32 v2, s2, s2, v48
	v_mov_b32_e32 v1, 0
	v_add_co_ci_u32_e64 v3, null, s3, 0, s2
	s_mov_b32 s2, exec_lo
	v_cmpx_gt_u32_e64 s14, v0
	s_cbranch_execnz .LBB21_147
; %bb.60:
	s_or_b32 exec_lo, exec_lo, s2
	s_delay_alu instid0(SALU_CYCLE_1)
	s_mov_b32 s2, exec_lo
	v_cmpx_gt_u32_e64 s14, v47
	s_cbranch_execnz .LBB21_148
.LBB21_61:
	s_or_b32 exec_lo, exec_lo, s2
	s_delay_alu instid0(SALU_CYCLE_1)
	s_mov_b32 s2, exec_lo
	v_cmpx_gt_u32_e64 s14, v46
	s_cbranch_execnz .LBB21_149
.LBB21_62:
	s_or_b32 exec_lo, exec_lo, s2
	s_delay_alu instid0(SALU_CYCLE_1)
	s_mov_b32 s2, exec_lo
	v_cmpx_gt_u32_e64 s14, v45
	s_cbranch_execnz .LBB21_150
.LBB21_63:
	s_or_b32 exec_lo, exec_lo, s2
	s_delay_alu instid0(SALU_CYCLE_1)
	s_mov_b32 s2, exec_lo
	v_cmpx_gt_u32_e64 s14, v44
	s_cbranch_execnz .LBB21_151
.LBB21_64:
	s_or_b32 exec_lo, exec_lo, s2
	s_delay_alu instid0(SALU_CYCLE_1)
	s_mov_b32 s2, exec_lo
	v_cmpx_gt_u32_e64 s14, v43
	s_cbranch_execnz .LBB21_152
.LBB21_65:
	s_or_b32 exec_lo, exec_lo, s2
	s_delay_alu instid0(SALU_CYCLE_1)
	s_mov_b32 s2, exec_lo
	v_cmpx_gt_u32_e64 s14, v42
	s_cbranch_execnz .LBB21_153
.LBB21_66:
	s_or_b32 exec_lo, exec_lo, s2
	s_delay_alu instid0(SALU_CYCLE_1)
	s_mov_b32 s2, exec_lo
	v_cmpx_gt_u32_e64 s14, v41
	s_cbranch_execnz .LBB21_154
.LBB21_67:
	s_or_b32 exec_lo, exec_lo, s2
	s_delay_alu instid0(SALU_CYCLE_1)
	s_mov_b32 s2, exec_lo
	v_cmpx_gt_u32_e64 s14, v40
	s_cbranch_execnz .LBB21_155
.LBB21_68:
	s_or_b32 exec_lo, exec_lo, s2
	s_delay_alu instid0(SALU_CYCLE_1)
	s_mov_b32 s2, exec_lo
	v_cmpx_gt_u32_e64 s14, v39
	s_cbranch_execnz .LBB21_156
.LBB21_69:
	s_or_b32 exec_lo, exec_lo, s2
	s_delay_alu instid0(SALU_CYCLE_1)
	s_mov_b32 s2, exec_lo
	v_cmpx_gt_u32_e64 s14, v38
	s_cbranch_execnz .LBB21_157
.LBB21_70:
	s_or_b32 exec_lo, exec_lo, s2
	s_delay_alu instid0(SALU_CYCLE_1)
	s_mov_b32 s2, exec_lo
	v_cmpx_gt_u32_e64 s14, v37
	s_cbranch_execnz .LBB21_158
.LBB21_71:
	s_or_b32 exec_lo, exec_lo, s2
	s_delay_alu instid0(SALU_CYCLE_1)
	s_mov_b32 s2, exec_lo
	v_cmpx_gt_u32_e64 s14, v36
	s_cbranch_execnz .LBB21_159
.LBB21_72:
	s_or_b32 exec_lo, exec_lo, s2
	s_delay_alu instid0(SALU_CYCLE_1)
	s_mov_b32 s2, exec_lo
	v_cmpx_gt_u32_e64 s14, v35
	s_cbranch_execnz .LBB21_160
.LBB21_73:
	s_or_b32 exec_lo, exec_lo, s2
	s_delay_alu instid0(SALU_CYCLE_1)
	s_mov_b32 s2, exec_lo
	v_cmpx_gt_u32_e64 s14, v34
	s_cbranch_execnz .LBB21_161
.LBB21_74:
	s_or_b32 exec_lo, exec_lo, s2
	s_delay_alu instid0(SALU_CYCLE_1)
	s_mov_b32 s2, exec_lo
	v_cmpx_gt_u32_e64 s14, v33
	s_cbranch_execz .LBB21_76
.LBB21_75:
	s_waitcnt lgkmcnt(0)
	global_store_b32 v[2:3], v19, off offset:3840
.LBB21_76:
	s_or_b32 exec_lo, exec_lo, s2
	s_load_b32 s0, s[0:1], 0x40
	s_waitcnt lgkmcnt(0)
	s_bfe_u32 s0, s0, 0x10008
	s_delay_alu instid0(SALU_CYCLE_1)
	s_cmp_eq_u32 s0, 0
	s_cbranch_scc1 .LBB21_131
; %bb.77:
	s_add_u32 s0, s14, -1
	s_addc_u32 s1, s33, -1
	s_delay_alu instid0(SALU_CYCLE_1)
	s_lshr_b64 s[2:3], s[0:1], 4
	s_mov_b32 s1, exec_lo
	v_cmpx_eq_u64_e64 s[2:3], v[0:1]
	s_cbranch_execz .LBB21_131
; %bb.78:
	s_and_b32 s0, s0, 15
	s_mov_b32 s1, 0
	s_delay_alu instid0(SALU_CYCLE_1) | instskip(NEXT) | instid1(VALU_DEP_1)
	v_cmp_lt_i64_e64 s2, s[0:1], 8
	s_and_b32 vcc_lo, exec_lo, s2
	s_mov_b32 s2, -1
	s_cbranch_vccnz .LBB21_105
; %bb.79:
	v_cmp_lt_i64_e64 s2, s[0:1], 12
	s_delay_alu instid0(VALU_DEP_1)
	s_and_b32 vcc_lo, exec_lo, s2
	s_mov_b32 s2, -1
	s_cbranch_vccnz .LBB21_92
; %bb.80:
	v_cmp_lt_i64_e64 s2, s[0:1], 14
	s_delay_alu instid0(VALU_DEP_1)
	s_and_b32 vcc_lo, exec_lo, s2
	s_mov_b32 s2, -1
	s_cbranch_vccnz .LBB21_86
; %bb.81:
	v_cmp_gt_i64_e64 s2, s[0:1], 14
	s_delay_alu instid0(VALU_DEP_1)
	s_and_b32 vcc_lo, exec_lo, s2
	s_mov_b32 s2, -1
	s_cbranch_vccz .LBB21_83
; %bb.82:
	v_mov_b32_e32 v0, 0
	s_mov_b32 s2, 0
	global_store_b32 v0, v19, s[10:11]
.LBB21_83:
	s_and_not1_b32 vcc_lo, exec_lo, s2
	s_cbranch_vccnz .LBB21_85
; %bb.84:
	v_mov_b32_e32 v0, 0
	global_store_b32 v0, v18, s[10:11]
.LBB21_85:
	s_mov_b32 s2, 0
.LBB21_86:
	s_delay_alu instid0(SALU_CYCLE_1)
	s_and_not1_b32 vcc_lo, exec_lo, s2
	s_cbranch_vccnz .LBB21_91
; %bb.87:
	v_cmp_gt_i64_e64 s2, s[0:1], 12
	s_delay_alu instid0(VALU_DEP_1)
	s_and_b32 vcc_lo, exec_lo, s2
	s_mov_b32 s2, -1
	s_cbranch_vccz .LBB21_89
; %bb.88:
	v_mov_b32_e32 v0, 0
	s_mov_b32 s2, 0
	global_store_b32 v0, v17, s[10:11]
.LBB21_89:
	s_and_not1_b32 vcc_lo, exec_lo, s2
	s_cbranch_vccnz .LBB21_91
; %bb.90:
	v_mov_b32_e32 v0, 0
	global_store_b32 v0, v16, s[10:11]
.LBB21_91:
	s_mov_b32 s2, 0
.LBB21_92:
	s_delay_alu instid0(SALU_CYCLE_1)
	s_and_not1_b32 vcc_lo, exec_lo, s2
	s_cbranch_vccnz .LBB21_104
; %bb.93:
	v_cmp_lt_i64_e64 s2, s[0:1], 10
	s_delay_alu instid0(VALU_DEP_1)
	s_and_b32 vcc_lo, exec_lo, s2
	s_mov_b32 s2, -1
	s_cbranch_vccnz .LBB21_99
; %bb.94:
	v_cmp_gt_i64_e64 s2, s[0:1], 10
	s_delay_alu instid0(VALU_DEP_1)
	s_and_b32 vcc_lo, exec_lo, s2
	s_mov_b32 s2, -1
	s_cbranch_vccz .LBB21_96
; %bb.95:
	v_mov_b32_e32 v0, 0
	s_mov_b32 s2, 0
	global_store_b32 v0, v15, s[10:11]
.LBB21_96:
	s_and_not1_b32 vcc_lo, exec_lo, s2
	s_cbranch_vccnz .LBB21_98
; %bb.97:
	v_mov_b32_e32 v0, 0
	global_store_b32 v0, v14, s[10:11]
.LBB21_98:
	s_mov_b32 s2, 0
.LBB21_99:
	s_delay_alu instid0(SALU_CYCLE_1)
	s_and_not1_b32 vcc_lo, exec_lo, s2
	s_cbranch_vccnz .LBB21_104
; %bb.100:
	v_cmp_gt_i64_e64 s2, s[0:1], 8
	s_delay_alu instid0(VALU_DEP_1)
	s_and_b32 vcc_lo, exec_lo, s2
	s_mov_b32 s2, -1
	s_cbranch_vccz .LBB21_102
; %bb.101:
	v_mov_b32_e32 v0, 0
	s_mov_b32 s2, 0
	global_store_b32 v0, v13, s[10:11]
.LBB21_102:
	s_and_not1_b32 vcc_lo, exec_lo, s2
	s_cbranch_vccnz .LBB21_104
; %bb.103:
	v_mov_b32_e32 v0, 0
	global_store_b32 v0, v12, s[10:11]
.LBB21_104:
	s_mov_b32 s2, 0
.LBB21_105:
	s_delay_alu instid0(SALU_CYCLE_1)
	s_and_not1_b32 vcc_lo, exec_lo, s2
	s_cbranch_vccnz .LBB21_131
; %bb.106:
	v_cmp_lt_i64_e64 s2, s[0:1], 4
	s_delay_alu instid0(VALU_DEP_1)
	s_and_b32 vcc_lo, exec_lo, s2
	s_mov_b32 s2, -1
	s_cbranch_vccnz .LBB21_119
; %bb.107:
	v_cmp_lt_i64_e64 s2, s[0:1], 6
	s_delay_alu instid0(VALU_DEP_1)
	s_and_b32 vcc_lo, exec_lo, s2
	s_mov_b32 s2, -1
	s_cbranch_vccnz .LBB21_113
; %bb.108:
	v_cmp_gt_i64_e64 s2, s[0:1], 6
	s_delay_alu instid0(VALU_DEP_1)
	s_and_b32 vcc_lo, exec_lo, s2
	s_mov_b32 s2, -1
	s_cbranch_vccz .LBB21_110
; %bb.109:
	v_mov_b32_e32 v0, 0
	s_mov_b32 s2, 0
	global_store_b32 v0, v11, s[10:11]
.LBB21_110:
	s_and_not1_b32 vcc_lo, exec_lo, s2
	s_cbranch_vccnz .LBB21_112
; %bb.111:
	v_mov_b32_e32 v0, 0
	global_store_b32 v0, v10, s[10:11]
.LBB21_112:
	s_mov_b32 s2, 0
.LBB21_113:
	s_delay_alu instid0(SALU_CYCLE_1)
	s_and_not1_b32 vcc_lo, exec_lo, s2
	s_cbranch_vccnz .LBB21_118
; %bb.114:
	v_cmp_gt_i64_e64 s2, s[0:1], 4
	s_delay_alu instid0(VALU_DEP_1)
	s_and_b32 vcc_lo, exec_lo, s2
	s_mov_b32 s2, -1
	s_cbranch_vccz .LBB21_116
; %bb.115:
	v_mov_b32_e32 v0, 0
	s_mov_b32 s2, 0
	global_store_b32 v0, v9, s[10:11]
.LBB21_116:
	s_and_not1_b32 vcc_lo, exec_lo, s2
	s_cbranch_vccnz .LBB21_118
; %bb.117:
	v_mov_b32_e32 v0, 0
	global_store_b32 v0, v8, s[10:11]
.LBB21_118:
	s_mov_b32 s2, 0
.LBB21_119:
	s_delay_alu instid0(SALU_CYCLE_1)
	s_and_not1_b32 vcc_lo, exec_lo, s2
	s_cbranch_vccnz .LBB21_131
; %bb.120:
	v_cmp_lt_i64_e64 s2, s[0:1], 2
	s_delay_alu instid0(VALU_DEP_1)
	s_and_b32 vcc_lo, exec_lo, s2
	s_mov_b32 s2, -1
	s_cbranch_vccnz .LBB21_126
; %bb.121:
	v_cmp_gt_i64_e64 s2, s[0:1], 2
	s_delay_alu instid0(VALU_DEP_1)
	s_and_b32 vcc_lo, exec_lo, s2
	s_mov_b32 s2, -1
	s_cbranch_vccz .LBB21_123
; %bb.122:
	v_mov_b32_e32 v0, 0
	s_mov_b32 s2, 0
	global_store_b32 v0, v7, s[10:11]
.LBB21_123:
	s_and_not1_b32 vcc_lo, exec_lo, s2
	s_cbranch_vccnz .LBB21_125
; %bb.124:
	v_mov_b32_e32 v0, 0
	global_store_b32 v0, v6, s[10:11]
.LBB21_125:
	s_mov_b32 s2, 0
.LBB21_126:
	s_delay_alu instid0(SALU_CYCLE_1)
	s_and_not1_b32 vcc_lo, exec_lo, s2
	s_cbranch_vccnz .LBB21_131
; %bb.127:
	s_cmp_eq_u64 s[0:1], 1
	s_mov_b32 s0, -1
	s_cbranch_scc1 .LBB21_129
; %bb.128:
	v_mov_b32_e32 v0, 0
	s_mov_b32 s0, 0
	global_store_b32 v0, v5, s[10:11]
.LBB21_129:
	s_and_not1_b32 vcc_lo, exec_lo, s0
	s_cbranch_vccnz .LBB21_131
; %bb.130:
	v_mov_b32_e32 v0, 0
	global_store_b32 v0, v4, s[10:11]
.LBB21_131:
	s_nop 0
	s_sendmsg sendmsg(MSG_DEALLOC_VGPRS)
	s_endpgm
.LBB21_132:
	global_load_b32 v20, v[17:18], off
	v_dual_mov_b32 v1, s16 :: v_dual_mov_b32 v2, s17
	v_dual_mov_b32 v3, s18 :: v_dual_mov_b32 v4, s19
	;; [unrolled: 1-line block ×8, first 2 shown]
                                        ; kill: def $vgpr1 killed $vgpr20 killed $exec
	s_or_b32 exec_lo, exec_lo, s3
	s_delay_alu instid0(SALU_CYCLE_1)
	s_mov_b32 s2, exec_lo
	v_cmpx_gt_u32_e64 s14, v47
	s_cbranch_execz .LBB21_5
.LBB21_133:
	global_load_b32 v2, v[17:18], off offset:256
	s_or_b32 exec_lo, exec_lo, s2
	s_delay_alu instid0(SALU_CYCLE_1)
	s_mov_b32 s2, exec_lo
	v_cmpx_gt_u32_e64 s14, v46
	s_cbranch_execz .LBB21_6
.LBB21_134:
	global_load_b32 v3, v[17:18], off offset:512
	s_or_b32 exec_lo, exec_lo, s2
	s_delay_alu instid0(SALU_CYCLE_1)
	s_mov_b32 s2, exec_lo
	v_cmpx_gt_u32_e64 s14, v45
	s_cbranch_execz .LBB21_7
.LBB21_135:
	global_load_b32 v4, v[17:18], off offset:768
	s_or_b32 exec_lo, exec_lo, s2
	s_delay_alu instid0(SALU_CYCLE_1)
	s_mov_b32 s2, exec_lo
	v_cmpx_gt_u32_e64 s14, v44
	s_cbranch_execz .LBB21_8
.LBB21_136:
	global_load_b32 v5, v[17:18], off offset:1024
	s_or_b32 exec_lo, exec_lo, s2
	s_delay_alu instid0(SALU_CYCLE_1)
	s_mov_b32 s2, exec_lo
	v_cmpx_gt_u32_e64 s14, v43
	s_cbranch_execz .LBB21_9
.LBB21_137:
	global_load_b32 v6, v[17:18], off offset:1280
	s_or_b32 exec_lo, exec_lo, s2
	s_delay_alu instid0(SALU_CYCLE_1)
	s_mov_b32 s2, exec_lo
	v_cmpx_gt_u32_e64 s14, v42
	s_cbranch_execz .LBB21_10
.LBB21_138:
	global_load_b32 v7, v[17:18], off offset:1536
	s_or_b32 exec_lo, exec_lo, s2
	s_delay_alu instid0(SALU_CYCLE_1)
	s_mov_b32 s2, exec_lo
	v_cmpx_gt_u32_e64 s14, v41
	s_cbranch_execz .LBB21_11
.LBB21_139:
	global_load_b32 v8, v[17:18], off offset:1792
	s_or_b32 exec_lo, exec_lo, s2
	s_delay_alu instid0(SALU_CYCLE_1)
	s_mov_b32 s2, exec_lo
	v_cmpx_gt_u32_e64 s14, v40
	s_cbranch_execz .LBB21_12
.LBB21_140:
	global_load_b32 v9, v[17:18], off offset:2048
	s_or_b32 exec_lo, exec_lo, s2
	s_delay_alu instid0(SALU_CYCLE_1)
	s_mov_b32 s2, exec_lo
	v_cmpx_gt_u32_e64 s14, v39
	s_cbranch_execz .LBB21_13
.LBB21_141:
	global_load_b32 v10, v[17:18], off offset:2304
	s_or_b32 exec_lo, exec_lo, s2
	s_delay_alu instid0(SALU_CYCLE_1)
	s_mov_b32 s2, exec_lo
	v_cmpx_gt_u32_e64 s14, v38
	s_cbranch_execz .LBB21_14
.LBB21_142:
	global_load_b32 v11, v[17:18], off offset:2560
	s_or_b32 exec_lo, exec_lo, s2
	s_delay_alu instid0(SALU_CYCLE_1)
	s_mov_b32 s2, exec_lo
	v_cmpx_gt_u32_e64 s14, v37
	s_cbranch_execz .LBB21_15
.LBB21_143:
	global_load_b32 v12, v[17:18], off offset:2816
	s_or_b32 exec_lo, exec_lo, s2
	s_delay_alu instid0(SALU_CYCLE_1)
	s_mov_b32 s2, exec_lo
	v_cmpx_gt_u32_e64 s14, v36
	s_cbranch_execz .LBB21_16
.LBB21_144:
	global_load_b32 v13, v[17:18], off offset:3072
	s_or_b32 exec_lo, exec_lo, s2
	s_delay_alu instid0(SALU_CYCLE_1)
	s_mov_b32 s2, exec_lo
	v_cmpx_gt_u32_e64 s14, v35
	s_cbranch_execz .LBB21_17
.LBB21_145:
	global_load_b32 v14, v[17:18], off offset:3328
	s_or_b32 exec_lo, exec_lo, s2
	s_delay_alu instid0(SALU_CYCLE_1)
	s_mov_b32 s2, exec_lo
	v_cmpx_gt_u32_e64 s14, v34
	s_cbranch_execz .LBB21_18
.LBB21_146:
	global_load_b32 v15, v[17:18], off offset:3584
	s_or_b32 exec_lo, exec_lo, s2
	s_delay_alu instid0(SALU_CYCLE_1)
	s_mov_b32 s2, exec_lo
	v_cmpx_gt_u32_e64 s14, v33
	s_cbranch_execnz .LBB21_19
	s_branch .LBB21_20
.LBB21_147:
	s_waitcnt lgkmcnt(15)
	global_store_b32 v[2:3], v5, off
	s_or_b32 exec_lo, exec_lo, s2
	s_delay_alu instid0(SALU_CYCLE_1)
	s_mov_b32 s2, exec_lo
	v_cmpx_gt_u32_e64 s14, v47
	s_cbranch_execz .LBB21_61
.LBB21_148:
	s_waitcnt lgkmcnt(14)
	global_store_b32 v[2:3], v4, off offset:256
	s_or_b32 exec_lo, exec_lo, s2
	s_delay_alu instid0(SALU_CYCLE_1)
	s_mov_b32 s2, exec_lo
	v_cmpx_gt_u32_e64 s14, v46
	s_cbranch_execz .LBB21_62
.LBB21_149:
	s_waitcnt lgkmcnt(13)
	global_store_b32 v[2:3], v6, off offset:512
	s_or_b32 exec_lo, exec_lo, s2
	s_delay_alu instid0(SALU_CYCLE_1)
	s_mov_b32 s2, exec_lo
	v_cmpx_gt_u32_e64 s14, v45
	s_cbranch_execz .LBB21_63
.LBB21_150:
	s_waitcnt lgkmcnt(12)
	global_store_b32 v[2:3], v7, off offset:768
	s_or_b32 exec_lo, exec_lo, s2
	s_delay_alu instid0(SALU_CYCLE_1)
	s_mov_b32 s2, exec_lo
	v_cmpx_gt_u32_e64 s14, v44
	s_cbranch_execz .LBB21_64
.LBB21_151:
	s_waitcnt lgkmcnt(11)
	global_store_b32 v[2:3], v8, off offset:1024
	s_or_b32 exec_lo, exec_lo, s2
	s_delay_alu instid0(SALU_CYCLE_1)
	s_mov_b32 s2, exec_lo
	v_cmpx_gt_u32_e64 s14, v43
	s_cbranch_execz .LBB21_65
.LBB21_152:
	s_waitcnt lgkmcnt(10)
	global_store_b32 v[2:3], v9, off offset:1280
	s_or_b32 exec_lo, exec_lo, s2
	s_delay_alu instid0(SALU_CYCLE_1)
	s_mov_b32 s2, exec_lo
	v_cmpx_gt_u32_e64 s14, v42
	s_cbranch_execz .LBB21_66
.LBB21_153:
	s_waitcnt lgkmcnt(9)
	global_store_b32 v[2:3], v10, off offset:1536
	s_or_b32 exec_lo, exec_lo, s2
	s_delay_alu instid0(SALU_CYCLE_1)
	s_mov_b32 s2, exec_lo
	v_cmpx_gt_u32_e64 s14, v41
	s_cbranch_execz .LBB21_67
.LBB21_154:
	s_waitcnt lgkmcnt(8)
	global_store_b32 v[2:3], v11, off offset:1792
	s_or_b32 exec_lo, exec_lo, s2
	s_delay_alu instid0(SALU_CYCLE_1)
	s_mov_b32 s2, exec_lo
	v_cmpx_gt_u32_e64 s14, v40
	s_cbranch_execz .LBB21_68
.LBB21_155:
	s_waitcnt lgkmcnt(7)
	global_store_b32 v[2:3], v12, off offset:2048
	s_or_b32 exec_lo, exec_lo, s2
	s_delay_alu instid0(SALU_CYCLE_1)
	s_mov_b32 s2, exec_lo
	v_cmpx_gt_u32_e64 s14, v39
	s_cbranch_execz .LBB21_69
.LBB21_156:
	s_waitcnt lgkmcnt(6)
	global_store_b32 v[2:3], v13, off offset:2304
	s_or_b32 exec_lo, exec_lo, s2
	s_delay_alu instid0(SALU_CYCLE_1)
	s_mov_b32 s2, exec_lo
	v_cmpx_gt_u32_e64 s14, v38
	s_cbranch_execz .LBB21_70
.LBB21_157:
	s_waitcnt lgkmcnt(5)
	global_store_b32 v[2:3], v14, off offset:2560
	s_or_b32 exec_lo, exec_lo, s2
	s_delay_alu instid0(SALU_CYCLE_1)
	s_mov_b32 s2, exec_lo
	v_cmpx_gt_u32_e64 s14, v37
	s_cbranch_execz .LBB21_71
.LBB21_158:
	s_waitcnt lgkmcnt(4)
	global_store_b32 v[2:3], v15, off offset:2816
	s_or_b32 exec_lo, exec_lo, s2
	s_delay_alu instid0(SALU_CYCLE_1)
	s_mov_b32 s2, exec_lo
	v_cmpx_gt_u32_e64 s14, v36
	s_cbranch_execz .LBB21_72
.LBB21_159:
	s_waitcnt lgkmcnt(3)
	global_store_b32 v[2:3], v16, off offset:3072
	s_or_b32 exec_lo, exec_lo, s2
	s_delay_alu instid0(SALU_CYCLE_1)
	s_mov_b32 s2, exec_lo
	v_cmpx_gt_u32_e64 s14, v35
	s_cbranch_execz .LBB21_73
.LBB21_160:
	s_waitcnt lgkmcnt(2)
	global_store_b32 v[2:3], v17, off offset:3328
	s_or_b32 exec_lo, exec_lo, s2
	s_delay_alu instid0(SALU_CYCLE_1)
	s_mov_b32 s2, exec_lo
	v_cmpx_gt_u32_e64 s14, v34
	s_cbranch_execz .LBB21_74
.LBB21_161:
	s_waitcnt lgkmcnt(1)
	global_store_b32 v[2:3], v18, off offset:3584
	s_or_b32 exec_lo, exec_lo, s2
	s_delay_alu instid0(SALU_CYCLE_1)
	s_mov_b32 s2, exec_lo
	v_cmpx_gt_u32_e64 s14, v33
	s_cbranch_execnz .LBB21_75
	s_branch .LBB21_76
	.section	.rodata,"a",@progbits
	.p2align	6, 0x0
	.amdhsa_kernel _ZN7rocprim17ROCPRIM_304000_NS6detail20lookback_scan_kernelILNS1_25lookback_scan_determinismE0ELb0ENS1_19wrapped_scan_configINS0_14default_configEiEEPKiPiSt10multipliesIiEiiNS1_19lookback_scan_stateIiLb0ELb1EEEEEvT2_T3_mT5_T4_T7_jPT6_SK_bb
		.amdhsa_group_segment_fixed_size 4224
		.amdhsa_private_segment_fixed_size 0
		.amdhsa_kernarg_size 68
		.amdhsa_user_sgpr_count 15
		.amdhsa_user_sgpr_dispatch_ptr 0
		.amdhsa_user_sgpr_queue_ptr 0
		.amdhsa_user_sgpr_kernarg_segment_ptr 1
		.amdhsa_user_sgpr_dispatch_id 0
		.amdhsa_user_sgpr_private_segment_size 0
		.amdhsa_wavefront_size32 1
		.amdhsa_uses_dynamic_stack 0
		.amdhsa_enable_private_segment 0
		.amdhsa_system_sgpr_workgroup_id_x 1
		.amdhsa_system_sgpr_workgroup_id_y 0
		.amdhsa_system_sgpr_workgroup_id_z 0
		.amdhsa_system_sgpr_workgroup_info 0
		.amdhsa_system_vgpr_workitem_id 0
		.amdhsa_next_free_vgpr 56
		.amdhsa_next_free_sgpr 35
		.amdhsa_reserve_vcc 1
		.amdhsa_float_round_mode_32 0
		.amdhsa_float_round_mode_16_64 0
		.amdhsa_float_denorm_mode_32 3
		.amdhsa_float_denorm_mode_16_64 3
		.amdhsa_dx10_clamp 1
		.amdhsa_ieee_mode 1
		.amdhsa_fp16_overflow 0
		.amdhsa_workgroup_processor_mode 1
		.amdhsa_memory_ordered 1
		.amdhsa_forward_progress 0
		.amdhsa_shared_vgpr_count 0
		.amdhsa_exception_fp_ieee_invalid_op 0
		.amdhsa_exception_fp_denorm_src 0
		.amdhsa_exception_fp_ieee_div_zero 0
		.amdhsa_exception_fp_ieee_overflow 0
		.amdhsa_exception_fp_ieee_underflow 0
		.amdhsa_exception_fp_ieee_inexact 0
		.amdhsa_exception_int_div_zero 0
	.end_amdhsa_kernel
	.section	.text._ZN7rocprim17ROCPRIM_304000_NS6detail20lookback_scan_kernelILNS1_25lookback_scan_determinismE0ELb0ENS1_19wrapped_scan_configINS0_14default_configEiEEPKiPiSt10multipliesIiEiiNS1_19lookback_scan_stateIiLb0ELb1EEEEEvT2_T3_mT5_T4_T7_jPT6_SK_bb,"axG",@progbits,_ZN7rocprim17ROCPRIM_304000_NS6detail20lookback_scan_kernelILNS1_25lookback_scan_determinismE0ELb0ENS1_19wrapped_scan_configINS0_14default_configEiEEPKiPiSt10multipliesIiEiiNS1_19lookback_scan_stateIiLb0ELb1EEEEEvT2_T3_mT5_T4_T7_jPT6_SK_bb,comdat
.Lfunc_end21:
	.size	_ZN7rocprim17ROCPRIM_304000_NS6detail20lookback_scan_kernelILNS1_25lookback_scan_determinismE0ELb0ENS1_19wrapped_scan_configINS0_14default_configEiEEPKiPiSt10multipliesIiEiiNS1_19lookback_scan_stateIiLb0ELb1EEEEEvT2_T3_mT5_T4_T7_jPT6_SK_bb, .Lfunc_end21-_ZN7rocprim17ROCPRIM_304000_NS6detail20lookback_scan_kernelILNS1_25lookback_scan_determinismE0ELb0ENS1_19wrapped_scan_configINS0_14default_configEiEEPKiPiSt10multipliesIiEiiNS1_19lookback_scan_stateIiLb0ELb1EEEEEvT2_T3_mT5_T4_T7_jPT6_SK_bb
                                        ; -- End function
	.section	.AMDGPU.csdata,"",@progbits
; Kernel info:
; codeLenInByte = 7912
; NumSgprs: 37
; NumVgprs: 56
; ScratchSize: 0
; MemoryBound: 0
; FloatMode: 240
; IeeeMode: 1
; LDSByteSize: 4224 bytes/workgroup (compile time only)
; SGPRBlocks: 4
; VGPRBlocks: 6
; NumSGPRsForWavesPerEU: 37
; NumVGPRsForWavesPerEU: 56
; Occupancy: 16
; WaveLimiterHint : 1
; COMPUTE_PGM_RSRC2:SCRATCH_EN: 0
; COMPUTE_PGM_RSRC2:USER_SGPR: 15
; COMPUTE_PGM_RSRC2:TRAP_HANDLER: 0
; COMPUTE_PGM_RSRC2:TGID_X_EN: 1
; COMPUTE_PGM_RSRC2:TGID_Y_EN: 0
; COMPUTE_PGM_RSRC2:TGID_Z_EN: 0
; COMPUTE_PGM_RSRC2:TIDIG_COMP_CNT: 0
	.section	.text._ZN7rocprim17ROCPRIM_304000_NS6detail16transform_kernelINS1_24wrapped_transform_configINS0_14default_configEiEEiPiS6_NS0_8identityIiEEEEvT1_mT2_T3_,"axG",@progbits,_ZN7rocprim17ROCPRIM_304000_NS6detail16transform_kernelINS1_24wrapped_transform_configINS0_14default_configEiEEiPiS6_NS0_8identityIiEEEEvT1_mT2_T3_,comdat
	.protected	_ZN7rocprim17ROCPRIM_304000_NS6detail16transform_kernelINS1_24wrapped_transform_configINS0_14default_configEiEEiPiS6_NS0_8identityIiEEEEvT1_mT2_T3_ ; -- Begin function _ZN7rocprim17ROCPRIM_304000_NS6detail16transform_kernelINS1_24wrapped_transform_configINS0_14default_configEiEEiPiS6_NS0_8identityIiEEEEvT1_mT2_T3_
	.globl	_ZN7rocprim17ROCPRIM_304000_NS6detail16transform_kernelINS1_24wrapped_transform_configINS0_14default_configEiEEiPiS6_NS0_8identityIiEEEEvT1_mT2_T3_
	.p2align	8
	.type	_ZN7rocprim17ROCPRIM_304000_NS6detail16transform_kernelINS1_24wrapped_transform_configINS0_14default_configEiEEiPiS6_NS0_8identityIiEEEEvT1_mT2_T3_,@function
_ZN7rocprim17ROCPRIM_304000_NS6detail16transform_kernelINS1_24wrapped_transform_configINS0_14default_configEiEEiPiS6_NS0_8identityIiEEEEvT1_mT2_T3_: ; @_ZN7rocprim17ROCPRIM_304000_NS6detail16transform_kernelINS1_24wrapped_transform_configINS0_14default_configEiEEiPiS6_NS0_8identityIiEEEEvT1_mT2_T3_
; %bb.0:
	s_clause 0x2
	s_load_b32 s2, s[0:1], 0x20
	s_load_b128 s[4:7], s[0:1], 0x0
	s_load_b64 s[16:17], s[0:1], 0x10
	s_mov_b32 s21, 0
	s_lshl_b32 s20, s15, 12
	v_lshlrev_b32_e32 v3, 2, v0
	s_lshl_b64 s[18:19], s[20:21], 2
	s_waitcnt lgkmcnt(0)
	s_add_i32 s2, s2, -1
	s_add_u32 s0, s4, s18
	s_addc_u32 s1, s5, s19
	v_add_co_u32 v1, s0, s0, v3
	s_delay_alu instid0(VALU_DEP_1)
	v_add_co_ci_u32_e64 v2, null, s1, 0, s0
	s_cmp_lg_u32 s15, s2
	s_mov_b32 s0, -1
	s_cbranch_scc0 .LBB22_2
; %bb.1:
	v_add_co_u32 v4, vcc_lo, 0x1000, v1
	v_add_co_ci_u32_e32 v5, vcc_lo, 0, v2, vcc_lo
	v_add_co_u32 v6, vcc_lo, v1, 0x2000
	v_add_co_ci_u32_e32 v7, vcc_lo, 0, v2, vcc_lo
	;; [unrolled: 2-line block ×3, first 2 shown]
	v_add_co_u32 v10, vcc_lo, 0x3000, v1
	global_load_b32 v13, v[6:7], off
	v_add_co_ci_u32_e32 v11, vcc_lo, 0, v2, vcc_lo
	s_clause 0xe
	global_load_b32 v14, v[1:2], off
	global_load_b32 v15, v[1:2], off offset:1024
	global_load_b32 v16, v[1:2], off offset:2048
	;; [unrolled: 1-line block ×9, first 2 shown]
	global_load_b32 v24, v[10:11], off
	global_load_b32 v25, v[10:11], off offset:1024
	global_load_b32 v26, v[6:7], off offset:-4096
	global_load_b32 v27, v[10:11], off offset:2048
	global_load_b32 v4, v[10:11], off offset:3072
	s_add_u32 s2, s16, s18
	s_addc_u32 s3, s17, s19
	v_add_co_u32 v11, s1, s2, v3
	s_delay_alu instid0(VALU_DEP_1) | instskip(NEXT) | instid1(VALU_DEP_2)
	v_add_co_ci_u32_e64 v12, null, s3, 0, s1
	v_add_co_u32 v5, vcc_lo, 0x1000, v11
	s_delay_alu instid0(VALU_DEP_2)
	v_add_co_ci_u32_e32 v6, vcc_lo, 0, v12, vcc_lo
	v_add_co_u32 v7, vcc_lo, v11, 0x2000
	v_add_co_ci_u32_e32 v8, vcc_lo, 0, v12, vcc_lo
	v_add_co_u32 v9, vcc_lo, 0x2000, v11
	;; [unrolled: 2-line block ×3, first 2 shown]
	s_mov_b32 s21, -1
	v_add_co_ci_u32_e32 v12, vcc_lo, 0, v12, vcc_lo
	s_waitcnt vmcnt(15)
	global_store_b32 v[7:8], v13, off
	s_waitcnt vmcnt(14)
	global_store_b32 v3, v14, s[2:3]
	s_waitcnt vmcnt(13)
	global_store_b32 v3, v15, s[2:3] offset:1024
	s_waitcnt vmcnt(12)
	global_store_b32 v3, v16, s[2:3] offset:2048
	;; [unrolled: 2-line block ×3, first 2 shown]
	s_waitcnt vmcnt(10)
	global_store_b32 v[5:6], v18, off offset:1024
	s_waitcnt vmcnt(9)
	global_store_b32 v[5:6], v19, off offset:2048
	;; [unrolled: 2-line block ×6, first 2 shown]
	s_waitcnt vmcnt(4)
	global_store_b32 v[11:12], v24, off
	s_waitcnt vmcnt(3)
	global_store_b32 v[11:12], v25, off offset:1024
	s_waitcnt vmcnt(2)
	global_store_b32 v[7:8], v26, off offset:-4096
	s_waitcnt vmcnt(1)
	global_store_b32 v[11:12], v27, off offset:2048
	s_cbranch_execz .LBB22_3
	s_branch .LBB22_52
.LBB22_2:
                                        ; implicit-def: $vgpr4
	s_and_not1_b32 vcc_lo, exec_lo, s0
	s_cbranch_vccnz .LBB22_52
.LBB22_3:
	s_sub_i32 s15, s6, s20
                                        ; implicit-def: $vgpr5
	s_delay_alu instid0(SALU_CYCLE_1)
	v_cmp_gt_u32_e32 vcc_lo, s15, v0
	s_and_saveexec_b32 s0, vcc_lo
	s_cbranch_execz .LBB22_5
; %bb.4:
	global_load_b32 v5, v[1:2], off
.LBB22_5:
	s_or_b32 exec_lo, exec_lo, s0
	s_waitcnt vmcnt(0)
	v_or_b32_e32 v4, 0x100, v0
                                        ; implicit-def: $vgpr6
	s_delay_alu instid0(VALU_DEP_1) | instskip(NEXT) | instid1(VALU_DEP_1)
	v_cmp_gt_u32_e64 s0, s15, v4
	s_and_saveexec_b32 s1, s0
	s_cbranch_execz .LBB22_7
; %bb.6:
	global_load_b32 v6, v[1:2], off offset:1024
.LBB22_7:
	s_or_b32 exec_lo, exec_lo, s1
	v_or_b32_e32 v4, 0x200, v0
                                        ; implicit-def: $vgpr7
	s_delay_alu instid0(VALU_DEP_1) | instskip(NEXT) | instid1(VALU_DEP_1)
	v_cmp_gt_u32_e64 s1, s15, v4
	s_and_saveexec_b32 s2, s1
	s_cbranch_execz .LBB22_9
; %bb.8:
	global_load_b32 v7, v[1:2], off offset:2048
.LBB22_9:
	s_or_b32 exec_lo, exec_lo, s2
	v_or_b32_e32 v4, 0x300, v0
                                        ; implicit-def: $vgpr8
	s_delay_alu instid0(VALU_DEP_1) | instskip(NEXT) | instid1(VALU_DEP_1)
	v_cmp_gt_u32_e64 s2, s15, v4
	s_and_saveexec_b32 s3, s2
	s_cbranch_execz .LBB22_11
; %bb.10:
	global_load_b32 v8, v[1:2], off offset:3072
.LBB22_11:
	s_or_b32 exec_lo, exec_lo, s3
	v_or_b32_e32 v4, 0x400, v0
                                        ; implicit-def: $vgpr9
	s_delay_alu instid0(VALU_DEP_1) | instskip(NEXT) | instid1(VALU_DEP_1)
	v_cmp_gt_u32_e64 s3, s15, v4
	s_and_saveexec_b32 s5, s3
	s_cbranch_execz .LBB22_13
; %bb.12:
	v_add_co_u32 v9, s4, 0x1000, v1
	s_delay_alu instid0(VALU_DEP_1)
	v_add_co_ci_u32_e64 v10, s4, 0, v2, s4
	global_load_b32 v9, v[9:10], off
.LBB22_13:
	s_or_b32 exec_lo, exec_lo, s5
	v_or_b32_e32 v4, 0x500, v0
                                        ; implicit-def: $vgpr10
	s_delay_alu instid0(VALU_DEP_1) | instskip(NEXT) | instid1(VALU_DEP_1)
	v_cmp_gt_u32_e64 s4, s15, v4
	s_and_saveexec_b32 s6, s4
	s_cbranch_execz .LBB22_15
; %bb.14:
	v_add_co_u32 v10, s5, 0x1000, v1
	s_delay_alu instid0(VALU_DEP_1)
	v_add_co_ci_u32_e64 v11, s5, 0, v2, s5
	global_load_b32 v10, v[10:11], off offset:1024
.LBB22_15:
	s_or_b32 exec_lo, exec_lo, s6
	v_or_b32_e32 v4, 0x600, v0
                                        ; implicit-def: $vgpr11
	s_delay_alu instid0(VALU_DEP_1) | instskip(NEXT) | instid1(VALU_DEP_1)
	v_cmp_gt_u32_e64 s5, s15, v4
	s_and_saveexec_b32 s7, s5
	s_cbranch_execz .LBB22_17
; %bb.16:
	v_add_co_u32 v11, s6, 0x1000, v1
	s_delay_alu instid0(VALU_DEP_1)
	v_add_co_ci_u32_e64 v12, s6, 0, v2, s6
	global_load_b32 v11, v[11:12], off offset:2048
.LBB22_17:
	s_or_b32 exec_lo, exec_lo, s7
	v_or_b32_e32 v4, 0x700, v0
                                        ; implicit-def: $vgpr12
	s_delay_alu instid0(VALU_DEP_1) | instskip(NEXT) | instid1(VALU_DEP_1)
	v_cmp_gt_u32_e64 s6, s15, v4
	s_and_saveexec_b32 s8, s6
	s_cbranch_execz .LBB22_19
; %bb.18:
	v_add_co_u32 v12, s7, 0x1000, v1
	s_delay_alu instid0(VALU_DEP_1)
	v_add_co_ci_u32_e64 v13, s7, 0, v2, s7
	global_load_b32 v12, v[12:13], off offset:3072
.LBB22_19:
	s_or_b32 exec_lo, exec_lo, s8
	v_or_b32_e32 v4, 0x800, v0
                                        ; implicit-def: $vgpr13
	s_delay_alu instid0(VALU_DEP_1) | instskip(NEXT) | instid1(VALU_DEP_1)
	v_cmp_gt_u32_e64 s7, s15, v4
	s_and_saveexec_b32 s9, s7
	s_cbranch_execz .LBB22_21
; %bb.20:
	v_add_co_u32 v13, s8, 0x2000, v1
	s_delay_alu instid0(VALU_DEP_1)
	v_add_co_ci_u32_e64 v14, s8, 0, v2, s8
	global_load_b32 v13, v[13:14], off
.LBB22_21:
	s_or_b32 exec_lo, exec_lo, s9
	v_or_b32_e32 v4, 0x900, v0
                                        ; implicit-def: $vgpr14
	s_delay_alu instid0(VALU_DEP_1) | instskip(NEXT) | instid1(VALU_DEP_1)
	v_cmp_gt_u32_e64 s8, s15, v4
	s_and_saveexec_b32 s10, s8
	s_cbranch_execz .LBB22_23
; %bb.22:
	v_add_co_u32 v14, s9, 0x2000, v1
	s_delay_alu instid0(VALU_DEP_1)
	v_add_co_ci_u32_e64 v15, s9, 0, v2, s9
	global_load_b32 v14, v[14:15], off offset:1024
.LBB22_23:
	s_or_b32 exec_lo, exec_lo, s10
	v_or_b32_e32 v4, 0xa00, v0
                                        ; implicit-def: $vgpr15
	s_delay_alu instid0(VALU_DEP_1) | instskip(NEXT) | instid1(VALU_DEP_1)
	v_cmp_gt_u32_e64 s9, s15, v4
	s_and_saveexec_b32 s11, s9
	s_cbranch_execz .LBB22_25
; %bb.24:
	v_add_co_u32 v15, s10, 0x2000, v1
	s_delay_alu instid0(VALU_DEP_1)
	v_add_co_ci_u32_e64 v16, s10, 0, v2, s10
	global_load_b32 v15, v[15:16], off offset:2048
.LBB22_25:
	s_or_b32 exec_lo, exec_lo, s11
	v_or_b32_e32 v4, 0xb00, v0
                                        ; implicit-def: $vgpr16
	s_delay_alu instid0(VALU_DEP_1) | instskip(NEXT) | instid1(VALU_DEP_1)
	v_cmp_gt_u32_e64 s10, s15, v4
	s_and_saveexec_b32 s12, s10
	s_cbranch_execz .LBB22_27
; %bb.26:
	v_add_co_u32 v16, s11, 0x2000, v1
	s_delay_alu instid0(VALU_DEP_1)
	v_add_co_ci_u32_e64 v17, s11, 0, v2, s11
	global_load_b32 v16, v[16:17], off offset:3072
.LBB22_27:
	s_or_b32 exec_lo, exec_lo, s12
	v_or_b32_e32 v4, 0xc00, v0
                                        ; implicit-def: $vgpr17
	s_delay_alu instid0(VALU_DEP_1) | instskip(NEXT) | instid1(VALU_DEP_1)
	v_cmp_gt_u32_e64 s11, s15, v4
	s_and_saveexec_b32 s13, s11
	s_cbranch_execz .LBB22_29
; %bb.28:
	v_add_co_u32 v17, s12, 0x3000, v1
	s_delay_alu instid0(VALU_DEP_1)
	v_add_co_ci_u32_e64 v18, s12, 0, v2, s12
	global_load_b32 v17, v[17:18], off
.LBB22_29:
	s_or_b32 exec_lo, exec_lo, s13
	v_or_b32_e32 v4, 0xd00, v0
                                        ; implicit-def: $vgpr18
	s_delay_alu instid0(VALU_DEP_1) | instskip(NEXT) | instid1(VALU_DEP_1)
	v_cmp_gt_u32_e64 s12, s15, v4
	s_and_saveexec_b32 s14, s12
	s_cbranch_execz .LBB22_31
; %bb.30:
	v_add_co_u32 v18, s13, 0x3000, v1
	s_delay_alu instid0(VALU_DEP_1)
	v_add_co_ci_u32_e64 v19, s13, 0, v2, s13
	global_load_b32 v18, v[18:19], off offset:1024
.LBB22_31:
	s_or_b32 exec_lo, exec_lo, s14
	v_or_b32_e32 v4, 0xe00, v0
                                        ; implicit-def: $vgpr19
	s_delay_alu instid0(VALU_DEP_1) | instskip(NEXT) | instid1(VALU_DEP_1)
	v_cmp_gt_u32_e64 s13, s15, v4
	s_and_saveexec_b32 s20, s13
	s_cbranch_execz .LBB22_33
; %bb.32:
	v_add_co_u32 v19, s14, 0x3000, v1
	s_delay_alu instid0(VALU_DEP_1)
	v_add_co_ci_u32_e64 v20, s14, 0, v2, s14
	global_load_b32 v19, v[19:20], off offset:2048
.LBB22_33:
	s_or_b32 exec_lo, exec_lo, s20
	v_or_b32_e32 v0, 0xf00, v0
                                        ; implicit-def: $vgpr4
	s_delay_alu instid0(VALU_DEP_1) | instskip(NEXT) | instid1(VALU_DEP_1)
	v_cmp_gt_u32_e64 s21, s15, v0
	s_and_saveexec_b32 s15, s21
	s_cbranch_execz .LBB22_35
; %bb.34:
	v_add_co_u32 v0, s14, 0x3000, v1
	s_delay_alu instid0(VALU_DEP_1)
	v_add_co_ci_u32_e64 v1, s14, 0, v2, s14
	global_load_b32 v4, v[0:1], off offset:3072
.LBB22_35:
	s_or_b32 exec_lo, exec_lo, s15
	s_add_u32 s14, s16, s18
	s_addc_u32 s15, s17, s19
	v_add_co_u32 v0, s14, s14, v3
	s_delay_alu instid0(VALU_DEP_1) | instskip(SKIP_1) | instid1(SALU_CYCLE_1)
	v_add_co_ci_u32_e64 v1, null, s15, 0, s14
	s_and_saveexec_b32 s14, vcc_lo
	s_xor_b32 s14, exec_lo, s14
	s_cbranch_execnz .LBB22_55
; %bb.36:
	s_or_b32 exec_lo, exec_lo, s14
	s_and_saveexec_b32 s14, s0
	s_cbranch_execnz .LBB22_56
.LBB22_37:
	s_or_b32 exec_lo, exec_lo, s14
	s_and_saveexec_b32 s0, s1
	s_cbranch_execnz .LBB22_57
.LBB22_38:
	s_or_b32 exec_lo, exec_lo, s0
	s_and_saveexec_b32 s0, s2
	s_cbranch_execnz .LBB22_58
.LBB22_39:
	s_or_b32 exec_lo, exec_lo, s0
	s_and_saveexec_b32 s0, s3
	s_cbranch_execnz .LBB22_59
.LBB22_40:
	s_or_b32 exec_lo, exec_lo, s0
	s_and_saveexec_b32 s0, s4
	s_cbranch_execnz .LBB22_60
.LBB22_41:
	s_or_b32 exec_lo, exec_lo, s0
	s_and_saveexec_b32 s0, s5
	s_cbranch_execnz .LBB22_61
.LBB22_42:
	s_or_b32 exec_lo, exec_lo, s0
	s_and_saveexec_b32 s0, s6
	s_cbranch_execnz .LBB22_62
.LBB22_43:
	s_or_b32 exec_lo, exec_lo, s0
	s_and_saveexec_b32 s0, s7
	s_cbranch_execnz .LBB22_63
.LBB22_44:
	s_or_b32 exec_lo, exec_lo, s0
	s_and_saveexec_b32 s0, s8
	s_cbranch_execnz .LBB22_64
.LBB22_45:
	s_or_b32 exec_lo, exec_lo, s0
	s_and_saveexec_b32 s0, s9
	s_cbranch_execnz .LBB22_65
.LBB22_46:
	s_or_b32 exec_lo, exec_lo, s0
	s_and_saveexec_b32 s0, s10
	s_cbranch_execnz .LBB22_66
.LBB22_47:
	s_or_b32 exec_lo, exec_lo, s0
	s_and_saveexec_b32 s0, s11
	s_cbranch_execnz .LBB22_67
.LBB22_48:
	s_or_b32 exec_lo, exec_lo, s0
	s_and_saveexec_b32 s0, s12
	s_cbranch_execnz .LBB22_68
.LBB22_49:
	s_or_b32 exec_lo, exec_lo, s0
	s_and_saveexec_b32 s0, s13
	s_cbranch_execz .LBB22_51
.LBB22_50:
	v_add_co_u32 v0, vcc_lo, 0x3000, v0
	v_add_co_ci_u32_e32 v1, vcc_lo, 0, v1, vcc_lo
	s_waitcnt vmcnt(0)
	global_store_b32 v[0:1], v19, off offset:2048
.LBB22_51:
	s_or_b32 exec_lo, exec_lo, s0
.LBB22_52:
	s_and_saveexec_b32 s0, s21
	s_cbranch_execnz .LBB22_54
; %bb.53:
	s_nop 0
	s_sendmsg sendmsg(MSG_DEALLOC_VGPRS)
	s_endpgm
.LBB22_54:
	s_add_u32 s0, s16, s18
	s_addc_u32 s1, s17, s19
	v_add_co_u32 v0, s0, s0, v3
	s_delay_alu instid0(VALU_DEP_1) | instskip(NEXT) | instid1(VALU_DEP_2)
	v_add_co_ci_u32_e64 v1, null, s1, 0, s0
	v_add_co_u32 v0, vcc_lo, 0x3000, v0
	s_delay_alu instid0(VALU_DEP_2)
	v_add_co_ci_u32_e32 v1, vcc_lo, 0, v1, vcc_lo
	s_waitcnt vmcnt(0)
	global_store_b32 v[0:1], v4, off offset:3072
	s_nop 0
	s_sendmsg sendmsg(MSG_DEALLOC_VGPRS)
	s_endpgm
.LBB22_55:
	global_store_b32 v[0:1], v5, off
	s_or_b32 exec_lo, exec_lo, s14
	s_and_saveexec_b32 s14, s0
	s_cbranch_execz .LBB22_37
.LBB22_56:
	s_waitcnt vmcnt(0)
	global_store_b32 v[0:1], v6, off offset:1024
	s_or_b32 exec_lo, exec_lo, s14
	s_and_saveexec_b32 s0, s1
	s_cbranch_execz .LBB22_38
.LBB22_57:
	s_waitcnt vmcnt(0)
	global_store_b32 v[0:1], v7, off offset:2048
	s_or_b32 exec_lo, exec_lo, s0
	s_and_saveexec_b32 s0, s2
	s_cbranch_execz .LBB22_39
.LBB22_58:
	s_waitcnt vmcnt(0)
	global_store_b32 v[0:1], v8, off offset:3072
	s_or_b32 exec_lo, exec_lo, s0
	s_and_saveexec_b32 s0, s3
	s_cbranch_execz .LBB22_40
.LBB22_59:
	v_add_co_u32 v5, vcc_lo, 0x1000, v0
	s_waitcnt vmcnt(0)
	v_add_co_ci_u32_e32 v6, vcc_lo, 0, v1, vcc_lo
	global_store_b32 v[5:6], v9, off
	s_or_b32 exec_lo, exec_lo, s0
	s_and_saveexec_b32 s0, s4
	s_cbranch_execz .LBB22_41
.LBB22_60:
	v_add_co_u32 v5, vcc_lo, 0x1000, v0
	s_waitcnt vmcnt(0)
	v_add_co_ci_u32_e32 v6, vcc_lo, 0, v1, vcc_lo
	global_store_b32 v[5:6], v10, off offset:1024
	s_or_b32 exec_lo, exec_lo, s0
	s_and_saveexec_b32 s0, s5
	s_cbranch_execz .LBB22_42
.LBB22_61:
	v_add_co_u32 v5, vcc_lo, 0x1000, v0
	s_waitcnt vmcnt(0)
	v_add_co_ci_u32_e32 v6, vcc_lo, 0, v1, vcc_lo
	global_store_b32 v[5:6], v11, off offset:2048
	s_or_b32 exec_lo, exec_lo, s0
	s_and_saveexec_b32 s0, s6
	s_cbranch_execz .LBB22_43
.LBB22_62:
	v_add_co_u32 v5, vcc_lo, 0x1000, v0
	s_waitcnt vmcnt(0)
	v_add_co_ci_u32_e32 v6, vcc_lo, 0, v1, vcc_lo
	global_store_b32 v[5:6], v12, off offset:3072
	s_or_b32 exec_lo, exec_lo, s0
	s_and_saveexec_b32 s0, s7
	s_cbranch_execz .LBB22_44
.LBB22_63:
	v_add_co_u32 v5, vcc_lo, 0x2000, v0
	s_waitcnt vmcnt(0)
	v_add_co_ci_u32_e32 v6, vcc_lo, 0, v1, vcc_lo
	global_store_b32 v[5:6], v13, off
	s_or_b32 exec_lo, exec_lo, s0
	s_and_saveexec_b32 s0, s8
	s_cbranch_execz .LBB22_45
.LBB22_64:
	v_add_co_u32 v5, vcc_lo, 0x2000, v0
	s_waitcnt vmcnt(0)
	v_add_co_ci_u32_e32 v6, vcc_lo, 0, v1, vcc_lo
	global_store_b32 v[5:6], v14, off offset:1024
	s_or_b32 exec_lo, exec_lo, s0
	s_and_saveexec_b32 s0, s9
	s_cbranch_execz .LBB22_46
.LBB22_65:
	v_add_co_u32 v5, vcc_lo, 0x2000, v0
	s_waitcnt vmcnt(0)
	v_add_co_ci_u32_e32 v6, vcc_lo, 0, v1, vcc_lo
	global_store_b32 v[5:6], v15, off offset:2048
	s_or_b32 exec_lo, exec_lo, s0
	s_and_saveexec_b32 s0, s10
	s_cbranch_execz .LBB22_47
.LBB22_66:
	v_add_co_u32 v5, vcc_lo, 0x2000, v0
	s_waitcnt vmcnt(0)
	v_add_co_ci_u32_e32 v6, vcc_lo, 0, v1, vcc_lo
	global_store_b32 v[5:6], v16, off offset:3072
	s_or_b32 exec_lo, exec_lo, s0
	s_and_saveexec_b32 s0, s11
	s_cbranch_execz .LBB22_48
.LBB22_67:
	v_add_co_u32 v5, vcc_lo, 0x3000, v0
	s_waitcnt vmcnt(0)
	v_add_co_ci_u32_e32 v6, vcc_lo, 0, v1, vcc_lo
	global_store_b32 v[5:6], v17, off
	s_or_b32 exec_lo, exec_lo, s0
	s_and_saveexec_b32 s0, s12
	s_cbranch_execz .LBB22_49
.LBB22_68:
	v_add_co_u32 v5, vcc_lo, 0x3000, v0
	s_waitcnt vmcnt(0)
	v_add_co_ci_u32_e32 v6, vcc_lo, 0, v1, vcc_lo
	global_store_b32 v[5:6], v18, off offset:1024
	s_or_b32 exec_lo, exec_lo, s0
	s_and_saveexec_b32 s0, s13
	s_cbranch_execnz .LBB22_50
	s_branch .LBB22_51
	.section	.rodata,"a",@progbits
	.p2align	6, 0x0
	.amdhsa_kernel _ZN7rocprim17ROCPRIM_304000_NS6detail16transform_kernelINS1_24wrapped_transform_configINS0_14default_configEiEEiPiS6_NS0_8identityIiEEEEvT1_mT2_T3_
		.amdhsa_group_segment_fixed_size 0
		.amdhsa_private_segment_fixed_size 0
		.amdhsa_kernarg_size 288
		.amdhsa_user_sgpr_count 15
		.amdhsa_user_sgpr_dispatch_ptr 0
		.amdhsa_user_sgpr_queue_ptr 0
		.amdhsa_user_sgpr_kernarg_segment_ptr 1
		.amdhsa_user_sgpr_dispatch_id 0
		.amdhsa_user_sgpr_private_segment_size 0
		.amdhsa_wavefront_size32 1
		.amdhsa_uses_dynamic_stack 0
		.amdhsa_enable_private_segment 0
		.amdhsa_system_sgpr_workgroup_id_x 1
		.amdhsa_system_sgpr_workgroup_id_y 0
		.amdhsa_system_sgpr_workgroup_id_z 0
		.amdhsa_system_sgpr_workgroup_info 0
		.amdhsa_system_vgpr_workitem_id 0
		.amdhsa_next_free_vgpr 28
		.amdhsa_next_free_sgpr 22
		.amdhsa_reserve_vcc 1
		.amdhsa_float_round_mode_32 0
		.amdhsa_float_round_mode_16_64 0
		.amdhsa_float_denorm_mode_32 3
		.amdhsa_float_denorm_mode_16_64 3
		.amdhsa_dx10_clamp 1
		.amdhsa_ieee_mode 1
		.amdhsa_fp16_overflow 0
		.amdhsa_workgroup_processor_mode 1
		.amdhsa_memory_ordered 1
		.amdhsa_forward_progress 0
		.amdhsa_shared_vgpr_count 0
		.amdhsa_exception_fp_ieee_invalid_op 0
		.amdhsa_exception_fp_denorm_src 0
		.amdhsa_exception_fp_ieee_div_zero 0
		.amdhsa_exception_fp_ieee_overflow 0
		.amdhsa_exception_fp_ieee_underflow 0
		.amdhsa_exception_fp_ieee_inexact 0
		.amdhsa_exception_int_div_zero 0
	.end_amdhsa_kernel
	.section	.text._ZN7rocprim17ROCPRIM_304000_NS6detail16transform_kernelINS1_24wrapped_transform_configINS0_14default_configEiEEiPiS6_NS0_8identityIiEEEEvT1_mT2_T3_,"axG",@progbits,_ZN7rocprim17ROCPRIM_304000_NS6detail16transform_kernelINS1_24wrapped_transform_configINS0_14default_configEiEEiPiS6_NS0_8identityIiEEEEvT1_mT2_T3_,comdat
.Lfunc_end22:
	.size	_ZN7rocprim17ROCPRIM_304000_NS6detail16transform_kernelINS1_24wrapped_transform_configINS0_14default_configEiEEiPiS6_NS0_8identityIiEEEEvT1_mT2_T3_, .Lfunc_end22-_ZN7rocprim17ROCPRIM_304000_NS6detail16transform_kernelINS1_24wrapped_transform_configINS0_14default_configEiEEiPiS6_NS0_8identityIiEEEEvT1_mT2_T3_
                                        ; -- End function
	.section	.AMDGPU.csdata,"",@progbits
; Kernel info:
; codeLenInByte = 2336
; NumSgprs: 24
; NumVgprs: 28
; ScratchSize: 0
; MemoryBound: 0
; FloatMode: 240
; IeeeMode: 1
; LDSByteSize: 0 bytes/workgroup (compile time only)
; SGPRBlocks: 2
; VGPRBlocks: 3
; NumSGPRsForWavesPerEU: 24
; NumVGPRsForWavesPerEU: 28
; Occupancy: 16
; WaveLimiterHint : 1
; COMPUTE_PGM_RSRC2:SCRATCH_EN: 0
; COMPUTE_PGM_RSRC2:USER_SGPR: 15
; COMPUTE_PGM_RSRC2:TRAP_HANDLER: 0
; COMPUTE_PGM_RSRC2:TGID_X_EN: 1
; COMPUTE_PGM_RSRC2:TGID_Y_EN: 0
; COMPUTE_PGM_RSRC2:TGID_Z_EN: 0
; COMPUTE_PGM_RSRC2:TIDIG_COMP_CNT: 0
	.section	.text._ZN7rocprim17ROCPRIM_304000_NS6detail18single_scan_kernelILb0ENS1_19wrapped_scan_configINS0_14default_configEiEEPKiPiSt10multipliesIiEiiEEvT1_mT4_T2_T3_,"axG",@progbits,_ZN7rocprim17ROCPRIM_304000_NS6detail18single_scan_kernelILb0ENS1_19wrapped_scan_configINS0_14default_configEiEEPKiPiSt10multipliesIiEiiEEvT1_mT4_T2_T3_,comdat
	.protected	_ZN7rocprim17ROCPRIM_304000_NS6detail18single_scan_kernelILb0ENS1_19wrapped_scan_configINS0_14default_configEiEEPKiPiSt10multipliesIiEiiEEvT1_mT4_T2_T3_ ; -- Begin function _ZN7rocprim17ROCPRIM_304000_NS6detail18single_scan_kernelILb0ENS1_19wrapped_scan_configINS0_14default_configEiEEPKiPiSt10multipliesIiEiiEEvT1_mT4_T2_T3_
	.globl	_ZN7rocprim17ROCPRIM_304000_NS6detail18single_scan_kernelILb0ENS1_19wrapped_scan_configINS0_14default_configEiEEPKiPiSt10multipliesIiEiiEEvT1_mT4_T2_T3_
	.p2align	8
	.type	_ZN7rocprim17ROCPRIM_304000_NS6detail18single_scan_kernelILb0ENS1_19wrapped_scan_configINS0_14default_configEiEEPKiPiSt10multipliesIiEiiEEvT1_mT4_T2_T3_,@function
_ZN7rocprim17ROCPRIM_304000_NS6detail18single_scan_kernelILb0ENS1_19wrapped_scan_configINS0_14default_configEiEEPKiPiSt10multipliesIiEiiEEvT1_mT4_T2_T3_: ; @_ZN7rocprim17ROCPRIM_304000_NS6detail18single_scan_kernelILb0ENS1_19wrapped_scan_configINS0_14default_configEiEEPKiPiSt10multipliesIiEiiEEvT1_mT4_T2_T3_
; %bb.0:
	s_load_b128 s[20:23], s[0:1], 0x0
	s_waitcnt lgkmcnt(0)
	s_load_b32 s4, s[20:21], 0x0
	v_cmp_gt_u32_e32 vcc_lo, s22, v0
	s_waitcnt lgkmcnt(0)
	s_mov_b32 s5, s4
	s_mov_b32 s6, s4
	;; [unrolled: 1-line block ×15, first 2 shown]
	v_lshlrev_b32_e32 v19, 2, v0
	v_dual_mov_b32 v1, s4 :: v_dual_mov_b32 v4, s7
	v_dual_mov_b32 v2, s5 :: v_dual_mov_b32 v3, s6
	v_mov_b32_e32 v6, s9
	s_delay_alu instid0(VALU_DEP_4) | instskip(NEXT) | instid1(VALU_DEP_1)
	v_add_co_u32 v17, s2, s20, v19
	v_add_co_ci_u32_e64 v18, null, s21, 0, s2
	v_dual_mov_b32 v5, s8 :: v_dual_mov_b32 v8, s11
	v_dual_mov_b32 v7, s10 :: v_dual_mov_b32 v10, s13
	;; [unrolled: 1-line block ×6, first 2 shown]
	s_and_saveexec_b32 s2, vcc_lo
	s_cbranch_execz .LBB23_2
; %bb.1:
	global_load_b32 v20, v[17:18], off
	v_dual_mov_b32 v1, s4 :: v_dual_mov_b32 v2, s5
	v_dual_mov_b32 v3, s6 :: v_dual_mov_b32 v4, s7
	;; [unrolled: 1-line block ×8, first 2 shown]
                                        ; kill: def $vgpr1 killed $vgpr20 killed $exec
.LBB23_2:
	s_or_b32 exec_lo, exec_lo, s2
	v_or_b32_e32 v1, 64, v0
	s_delay_alu instid0(VALU_DEP_1) | instskip(NEXT) | instid1(VALU_DEP_1)
	v_cmp_gt_u32_e64 s2, s22, v1
	s_and_saveexec_b32 s3, s2
	s_cbranch_execz .LBB23_4
; %bb.3:
	global_load_b32 v2, v[17:18], off offset:256
.LBB23_4:
	s_or_b32 exec_lo, exec_lo, s3
	v_or_b32_e32 v21, 0x80, v0
	s_delay_alu instid0(VALU_DEP_1) | instskip(NEXT) | instid1(VALU_DEP_1)
	v_cmp_gt_u32_e64 s3, s22, v21
	s_and_saveexec_b32 s4, s3
	s_cbranch_execz .LBB23_6
; %bb.5:
	global_load_b32 v3, v[17:18], off offset:512
.LBB23_6:
	;; [unrolled: 9-line block ×15, first 2 shown]
	s_or_b32 exec_lo, exec_lo, s17
	v_lshrrev_b32_e32 v17, 3, v0
	v_lshrrev_b32_e32 v1, 3, v1
	;; [unrolled: 1-line block ×5, first 2 shown]
	v_and_b32_e32 v17, 4, v17
	v_and_b32_e32 v1, 12, v1
	v_lshrrev_b32_e32 v23, 3, v24
	v_and_b32_e32 v24, 28, v18
	v_and_b32_e32 v22, 60, v22
	v_add_nc_u32_e32 v17, v17, v19
	v_add_nc_u32_e32 v18, v1, v19
	v_and_b32_e32 v1, 28, v21
	v_add_nc_u32_e32 v21, v24, v19
	v_add_nc_u32_e32 v22, v22, v19
	s_waitcnt vmcnt(0)
	ds_store_b32 v17, v20
	ds_store_b32 v18, v2 offset:256
	v_and_b32_e32 v2, 60, v23
	v_add_nc_u32_e32 v20, v1, v19
	v_lshrrev_b32_e32 v1, 3, v25
	ds_store_b32 v21, v3 offset:512
	v_lshrrev_b32_e32 v3, 3, v27
	v_add_nc_u32_e32 v23, v2, v19
	v_lshrrev_b32_e32 v2, 3, v26
	v_and_b32_e32 v1, 60, v1
	ds_store_b32 v20, v4 offset:768
	ds_store_b32 v22, v5 offset:1024
	v_and_b32_e32 v3, 0x7c, v3
	v_lshrrev_b32_e32 v4, 3, v28
	ds_store_b32 v23, v6 offset:1280
	v_add_nc_u32_e32 v24, v1, v19
	v_and_b32_e32 v1, 60, v2
	v_lshrrev_b32_e32 v2, 3, v29
	v_add_nc_u32_e32 v26, v3, v19
	v_lshrrev_b32_e32 v3, 3, v32
	v_and_b32_e32 v4, 0x7c, v4
	v_add_nc_u32_e32 v25, v1, v19
	v_and_b32_e32 v1, 0x7c, v2
	v_lshrrev_b32_e32 v2, 3, v30
	v_and_b32_e32 v3, 0x7c, v3
	v_add_nc_u32_e32 v27, v4, v19
	v_lshrrev_b32_e32 v4, 3, v33
	v_add_nc_u32_e32 v28, v1, v19
	v_and_b32_e32 v1, 0x7c, v2
	v_lshrrev_b32_e32 v2, 3, v31
	v_add_nc_u32_e32 v31, v3, v19
	v_lshrrev_b32_e32 v3, 1, v0
	v_and_b32_e32 v4, 0x7c, v4
	v_add_nc_u32_e32 v29, v1, v19
	v_and_b32_e32 v1, 0x7c, v2
	v_lshrrev_b32_e32 v2, 3, v34
	ds_store_b32 v24, v7 offset:1536
	v_add_nc_u32_e32 v32, v4, v19
	ds_store_b32 v25, v8 offset:1792
	v_add_nc_u32_e32 v30, v1, v19
	v_and_b32_e32 v1, 0x7c, v2
	v_lshlrev_b32_e32 v2, 4, v0
	ds_store_b32 v26, v9 offset:2048
	ds_store_b32 v27, v10 offset:2304
	ds_store_b32 v28, v11 offset:2560
	ds_store_b32 v29, v12 offset:2816
	v_add_nc_u32_e32 v33, v1, v19
	v_add_lshl_u32 v34, v3, v2, 2
	ds_store_b32 v30, v13 offset:3072
	ds_store_b32 v31, v14 offset:3328
	;; [unrolled: 1-line block ×3, first 2 shown]
	s_mov_b32 s18, exec_lo
	ds_store_b32 v33, v16 offset:3840
	s_waitcnt lgkmcnt(0)
	s_barrier
	buffer_gl0_inv
	ds_load_2addr_b32 v[7:8], v34 offset1:1
	ds_load_2addr_b32 v[5:6], v34 offset0:2 offset1:3
	ds_load_2addr_b32 v[3:4], v34 offset0:4 offset1:5
	;; [unrolled: 1-line block ×4, first 2 shown]
	s_waitcnt lgkmcnt(4)
	v_mul_lo_u32 v9, v8, v7
	s_waitcnt lgkmcnt(3)
	s_delay_alu instid0(VALU_DEP_1) | instskip(NEXT) | instid1(VALU_DEP_1)
	v_mul_lo_u32 v9, v9, v5
	v_mul_lo_u32 v9, v9, v6
	s_waitcnt lgkmcnt(2)
	s_delay_alu instid0(VALU_DEP_1) | instskip(NEXT) | instid1(VALU_DEP_1)
	v_mul_lo_u32 v9, v9, v3
	v_mul_lo_u32 v9, v9, v4
	s_waitcnt lgkmcnt(1)
	s_delay_alu instid0(VALU_DEP_1) | instskip(NEXT) | instid1(VALU_DEP_1)
	v_mul_lo_u32 v9, v9, v1
	v_mul_lo_u32 v35, v9, v2
	ds_load_2addr_b32 v[15:16], v34 offset0:10 offset1:11
	ds_load_2addr_b32 v[13:14], v34 offset0:12 offset1:13
	;; [unrolled: 1-line block ×3, first 2 shown]
	s_waitcnt lgkmcnt(0)
	s_barrier
	buffer_gl0_inv
	v_mul_lo_u32 v35, v35, v11
	s_delay_alu instid0(VALU_DEP_1) | instskip(NEXT) | instid1(VALU_DEP_1)
	v_mul_lo_u32 v35, v35, v12
	v_mul_lo_u32 v35, v35, v15
	s_delay_alu instid0(VALU_DEP_1) | instskip(NEXT) | instid1(VALU_DEP_1)
	v_mul_lo_u32 v35, v35, v16
	;; [unrolled: 3-line block ×3, first 2 shown]
	v_mul_lo_u32 v35, v35, v9
	s_delay_alu instid0(VALU_DEP_1)
	v_mul_lo_u32 v35, v35, v10
	ds_store_b32 v17, v35
	s_waitcnt lgkmcnt(0)
	s_barrier
	buffer_gl0_inv
	v_cmpx_gt_u32_e32 32, v0
	s_cbranch_execz .LBB23_34
; %bb.33:
	v_lshrrev_b32_e32 v36, 2, v0
	v_mbcnt_lo_u32_b32 v40, -1, 0
	s_delay_alu instid0(VALU_DEP_2) | instskip(NEXT) | instid1(VALU_DEP_2)
	v_and_b32_e32 v36, 12, v36
	v_and_b32_e32 v41, 15, v40
	v_add_nc_u32_e32 v43, -1, v40
	s_delay_alu instid0(VALU_DEP_3) | instskip(NEXT) | instid1(VALU_DEP_3)
	v_lshl_or_b32 v38, v0, 3, v36
	v_cmp_ne_u32_e64 s17, 0, v41
	ds_load_2addr_b32 v[36:37], v38 offset1:1
	s_waitcnt lgkmcnt(0)
	v_mul_lo_u32 v39, v37, v36
	s_delay_alu instid0(VALU_DEP_1) | instskip(NEXT) | instid1(VALU_DEP_1)
	v_mov_b32_dpp v42, v39 row_shr:1 row_mask:0xf bank_mask:0xf
	v_cndmask_b32_e64 v42, 1, v42, s17
	v_cmp_lt_u32_e64 s17, 1, v41
	s_delay_alu instid0(VALU_DEP_2) | instskip(NEXT) | instid1(VALU_DEP_1)
	v_mul_lo_u32 v39, v42, v39
	v_mov_b32_dpp v42, v39 row_shr:2 row_mask:0xf bank_mask:0xf
	s_delay_alu instid0(VALU_DEP_1) | instskip(SKIP_1) | instid1(VALU_DEP_2)
	v_cndmask_b32_e64 v42, 1, v42, s17
	v_cmp_lt_u32_e64 s17, 3, v41
	v_mul_lo_u32 v39, v39, v42
	s_delay_alu instid0(VALU_DEP_1) | instskip(NEXT) | instid1(VALU_DEP_1)
	v_mov_b32_dpp v42, v39 row_shr:4 row_mask:0xf bank_mask:0xf
	v_cndmask_b32_e64 v42, 1, v42, s17
	v_cmp_lt_u32_e64 s17, 7, v41
	s_delay_alu instid0(VALU_DEP_2) | instskip(NEXT) | instid1(VALU_DEP_1)
	v_mul_lo_u32 v39, v39, v42
	v_mov_b32_dpp v42, v39 row_shr:8 row_mask:0xf bank_mask:0xf
	s_delay_alu instid0(VALU_DEP_1) | instskip(SKIP_1) | instid1(VALU_DEP_2)
	v_cndmask_b32_e64 v41, 1, v42, s17
	v_and_b32_e32 v42, 16, v40
	v_mul_lo_u32 v39, v39, v41
	s_delay_alu instid0(VALU_DEP_2) | instskip(SKIP_4) | instid1(VALU_DEP_2)
	v_cmp_ne_u32_e64 s17, 0, v42
	ds_swizzle_b32 v41, v39 offset:swizzle(BROADCAST,32,15)
	s_waitcnt lgkmcnt(0)
	v_cndmask_b32_e64 v41, 1, v41, s17
	v_cmp_gt_i32_e64 s17, 0, v43
	v_mul_lo_u32 v39, v39, v41
	s_delay_alu instid0(VALU_DEP_2) | instskip(SKIP_1) | instid1(VALU_DEP_2)
	v_cndmask_b32_e64 v40, v43, v40, s17
	v_cmp_eq_u32_e64 s17, 0, v0
	v_lshlrev_b32_e32 v40, 2, v40
	ds_bpermute_b32 v39, v40, v39
	s_waitcnt lgkmcnt(0)
	v_mul_lo_u32 v36, v39, v36
	s_delay_alu instid0(VALU_DEP_1) | instskip(NEXT) | instid1(VALU_DEP_1)
	v_cndmask_b32_e64 v35, v36, v35, s17
	v_mul_lo_u32 v36, v35, v37
	ds_store_2addr_b32 v38, v35, v36 offset1:1
.LBB23_34:
	s_or_b32 exec_lo, exec_lo, s18
	v_mov_b32_e32 v35, 1
	s_mov_b32 s18, exec_lo
	s_waitcnt lgkmcnt(0)
	s_barrier
	buffer_gl0_inv
	v_cmpx_ne_u32_e32 0, v0
	s_cbranch_execz .LBB23_36
; %bb.35:
	v_add_nc_u32_e32 v0, -1, v0
	s_delay_alu instid0(VALU_DEP_1) | instskip(NEXT) | instid1(VALU_DEP_1)
	v_lshrrev_b32_e32 v35, 5, v0
	v_add_lshl_u32 v0, v35, v0, 2
	ds_load_b32 v35, v0
.LBB23_36:
	s_or_b32 exec_lo, exec_lo, s18
	s_waitcnt lgkmcnt(0)
	v_mul_lo_u32 v0, v35, v7
	s_barrier
	buffer_gl0_inv
	s_load_b64 s[0:1], s[0:1], 0x18
	v_mul_lo_u32 v7, v0, v8
	s_delay_alu instid0(VALU_DEP_1) | instskip(NEXT) | instid1(VALU_DEP_1)
	v_mul_lo_u32 v5, v7, v5
	v_mul_lo_u32 v6, v5, v6
	s_delay_alu instid0(VALU_DEP_1) | instskip(NEXT) | instid1(VALU_DEP_1)
	v_mul_lo_u32 v3, v6, v3
	;; [unrolled: 3-line block ×7, first 2 shown]
	v_mul_lo_u32 v10, v9, v10
	ds_store_2addr_b32 v34, v0, v7 offset1:1
	ds_store_2addr_b32 v34, v5, v6 offset0:2 offset1:3
	ds_store_2addr_b32 v34, v3, v4 offset0:4 offset1:5
	;; [unrolled: 1-line block ×7, first 2 shown]
	s_waitcnt lgkmcnt(0)
	s_barrier
	buffer_gl0_inv
	ds_load_b32 v16, v18 offset:256
	ds_load_b32 v15, v21 offset:512
	;; [unrolled: 1-line block ×15, first 2 shown]
	v_add_co_u32 v0, s0, s0, v19
	s_delay_alu instid0(VALU_DEP_1)
	v_add_co_ci_u32_e64 v1, null, s1, 0, s0
	s_and_saveexec_b32 s0, vcc_lo
	s_cbranch_execnz .LBB23_53
; %bb.37:
	s_or_b32 exec_lo, exec_lo, s0
	s_and_saveexec_b32 s0, s2
	s_cbranch_execnz .LBB23_54
.LBB23_38:
	s_or_b32 exec_lo, exec_lo, s0
	s_and_saveexec_b32 s0, s3
	s_cbranch_execnz .LBB23_55
.LBB23_39:
	s_or_b32 exec_lo, exec_lo, s0
	s_and_saveexec_b32 s0, s4
	s_cbranch_execnz .LBB23_56
.LBB23_40:
	s_or_b32 exec_lo, exec_lo, s0
	s_and_saveexec_b32 s0, s5
	s_cbranch_execnz .LBB23_57
.LBB23_41:
	s_or_b32 exec_lo, exec_lo, s0
	s_and_saveexec_b32 s0, s6
	s_cbranch_execnz .LBB23_58
.LBB23_42:
	s_or_b32 exec_lo, exec_lo, s0
	s_and_saveexec_b32 s0, s7
	s_cbranch_execnz .LBB23_59
.LBB23_43:
	s_or_b32 exec_lo, exec_lo, s0
	s_and_saveexec_b32 s0, s8
	s_cbranch_execnz .LBB23_60
.LBB23_44:
	s_or_b32 exec_lo, exec_lo, s0
	s_and_saveexec_b32 s0, s9
	s_cbranch_execnz .LBB23_61
.LBB23_45:
	s_or_b32 exec_lo, exec_lo, s0
	s_and_saveexec_b32 s0, s10
	s_cbranch_execnz .LBB23_62
.LBB23_46:
	s_or_b32 exec_lo, exec_lo, s0
	s_and_saveexec_b32 s0, s11
	s_cbranch_execnz .LBB23_63
.LBB23_47:
	s_or_b32 exec_lo, exec_lo, s0
	s_and_saveexec_b32 s0, s12
	s_cbranch_execnz .LBB23_64
.LBB23_48:
	s_or_b32 exec_lo, exec_lo, s0
	s_and_saveexec_b32 s0, s13
	s_cbranch_execnz .LBB23_65
.LBB23_49:
	s_or_b32 exec_lo, exec_lo, s0
	s_and_saveexec_b32 s0, s14
	s_cbranch_execnz .LBB23_66
.LBB23_50:
	s_or_b32 exec_lo, exec_lo, s0
	s_and_saveexec_b32 s0, s15
	s_cbranch_execnz .LBB23_67
.LBB23_51:
	s_or_b32 exec_lo, exec_lo, s0
	s_and_saveexec_b32 s0, s16
	s_cbranch_execnz .LBB23_68
.LBB23_52:
	s_nop 0
	s_sendmsg sendmsg(MSG_DEALLOC_VGPRS)
	s_endpgm
.LBB23_53:
	ds_load_b32 v17, v17
	s_waitcnt lgkmcnt(0)
	global_store_b32 v[0:1], v17, off
	s_or_b32 exec_lo, exec_lo, s0
	s_and_saveexec_b32 s0, s2
	s_cbranch_execz .LBB23_38
.LBB23_54:
	s_waitcnt lgkmcnt(14)
	global_store_b32 v[0:1], v16, off offset:256
	s_or_b32 exec_lo, exec_lo, s0
	s_and_saveexec_b32 s0, s3
	s_cbranch_execz .LBB23_39
.LBB23_55:
	s_waitcnt lgkmcnt(13)
	global_store_b32 v[0:1], v15, off offset:512
	s_or_b32 exec_lo, exec_lo, s0
	s_and_saveexec_b32 s0, s4
	s_cbranch_execz .LBB23_40
.LBB23_56:
	s_waitcnt lgkmcnt(12)
	global_store_b32 v[0:1], v14, off offset:768
	s_or_b32 exec_lo, exec_lo, s0
	s_and_saveexec_b32 s0, s5
	s_cbranch_execz .LBB23_41
.LBB23_57:
	s_waitcnt lgkmcnt(11)
	global_store_b32 v[0:1], v13, off offset:1024
	s_or_b32 exec_lo, exec_lo, s0
	s_and_saveexec_b32 s0, s6
	s_cbranch_execz .LBB23_42
.LBB23_58:
	s_waitcnt lgkmcnt(10)
	global_store_b32 v[0:1], v12, off offset:1280
	s_or_b32 exec_lo, exec_lo, s0
	s_and_saveexec_b32 s0, s7
	s_cbranch_execz .LBB23_43
.LBB23_59:
	s_waitcnt lgkmcnt(9)
	global_store_b32 v[0:1], v11, off offset:1536
	s_or_b32 exec_lo, exec_lo, s0
	s_and_saveexec_b32 s0, s8
	s_cbranch_execz .LBB23_44
.LBB23_60:
	s_waitcnt lgkmcnt(8)
	global_store_b32 v[0:1], v10, off offset:1792
	s_or_b32 exec_lo, exec_lo, s0
	s_and_saveexec_b32 s0, s9
	s_cbranch_execz .LBB23_45
.LBB23_61:
	s_waitcnt lgkmcnt(7)
	global_store_b32 v[0:1], v9, off offset:2048
	s_or_b32 exec_lo, exec_lo, s0
	s_and_saveexec_b32 s0, s10
	s_cbranch_execz .LBB23_46
.LBB23_62:
	s_waitcnt lgkmcnt(6)
	global_store_b32 v[0:1], v8, off offset:2304
	s_or_b32 exec_lo, exec_lo, s0
	s_and_saveexec_b32 s0, s11
	s_cbranch_execz .LBB23_47
.LBB23_63:
	s_waitcnt lgkmcnt(5)
	global_store_b32 v[0:1], v7, off offset:2560
	s_or_b32 exec_lo, exec_lo, s0
	s_and_saveexec_b32 s0, s12
	s_cbranch_execz .LBB23_48
.LBB23_64:
	s_waitcnt lgkmcnt(4)
	global_store_b32 v[0:1], v6, off offset:2816
	s_or_b32 exec_lo, exec_lo, s0
	s_and_saveexec_b32 s0, s13
	s_cbranch_execz .LBB23_49
.LBB23_65:
	s_waitcnt lgkmcnt(3)
	global_store_b32 v[0:1], v5, off offset:3072
	s_or_b32 exec_lo, exec_lo, s0
	s_and_saveexec_b32 s0, s14
	s_cbranch_execz .LBB23_50
.LBB23_66:
	s_waitcnt lgkmcnt(2)
	global_store_b32 v[0:1], v4, off offset:3328
	s_or_b32 exec_lo, exec_lo, s0
	s_and_saveexec_b32 s0, s15
	s_cbranch_execz .LBB23_51
.LBB23_67:
	s_waitcnt lgkmcnt(1)
	global_store_b32 v[0:1], v3, off offset:3584
	s_or_b32 exec_lo, exec_lo, s0
	s_and_saveexec_b32 s0, s16
	s_cbranch_execz .LBB23_52
.LBB23_68:
	s_waitcnt lgkmcnt(0)
	global_store_b32 v[0:1], v2, off offset:3840
	s_nop 0
	s_sendmsg sendmsg(MSG_DEALLOC_VGPRS)
	s_endpgm
	.section	.rodata,"a",@progbits
	.p2align	6, 0x0
	.amdhsa_kernel _ZN7rocprim17ROCPRIM_304000_NS6detail18single_scan_kernelILb0ENS1_19wrapped_scan_configINS0_14default_configEiEEPKiPiSt10multipliesIiEiiEEvT1_mT4_T2_T3_
		.amdhsa_group_segment_fixed_size 4224
		.amdhsa_private_segment_fixed_size 0
		.amdhsa_kernarg_size 36
		.amdhsa_user_sgpr_count 15
		.amdhsa_user_sgpr_dispatch_ptr 0
		.amdhsa_user_sgpr_queue_ptr 0
		.amdhsa_user_sgpr_kernarg_segment_ptr 1
		.amdhsa_user_sgpr_dispatch_id 0
		.amdhsa_user_sgpr_private_segment_size 0
		.amdhsa_wavefront_size32 1
		.amdhsa_uses_dynamic_stack 0
		.amdhsa_enable_private_segment 0
		.amdhsa_system_sgpr_workgroup_id_x 1
		.amdhsa_system_sgpr_workgroup_id_y 0
		.amdhsa_system_sgpr_workgroup_id_z 0
		.amdhsa_system_sgpr_workgroup_info 0
		.amdhsa_system_vgpr_workitem_id 0
		.amdhsa_next_free_vgpr 44
		.amdhsa_next_free_sgpr 24
		.amdhsa_reserve_vcc 1
		.amdhsa_float_round_mode_32 0
		.amdhsa_float_round_mode_16_64 0
		.amdhsa_float_denorm_mode_32 3
		.amdhsa_float_denorm_mode_16_64 3
		.amdhsa_dx10_clamp 1
		.amdhsa_ieee_mode 1
		.amdhsa_fp16_overflow 0
		.amdhsa_workgroup_processor_mode 1
		.amdhsa_memory_ordered 1
		.amdhsa_forward_progress 0
		.amdhsa_shared_vgpr_count 0
		.amdhsa_exception_fp_ieee_invalid_op 0
		.amdhsa_exception_fp_denorm_src 0
		.amdhsa_exception_fp_ieee_div_zero 0
		.amdhsa_exception_fp_ieee_overflow 0
		.amdhsa_exception_fp_ieee_underflow 0
		.amdhsa_exception_fp_ieee_inexact 0
		.amdhsa_exception_int_div_zero 0
	.end_amdhsa_kernel
	.section	.text._ZN7rocprim17ROCPRIM_304000_NS6detail18single_scan_kernelILb0ENS1_19wrapped_scan_configINS0_14default_configEiEEPKiPiSt10multipliesIiEiiEEvT1_mT4_T2_T3_,"axG",@progbits,_ZN7rocprim17ROCPRIM_304000_NS6detail18single_scan_kernelILb0ENS1_19wrapped_scan_configINS0_14default_configEiEEPKiPiSt10multipliesIiEiiEEvT1_mT4_T2_T3_,comdat
.Lfunc_end23:
	.size	_ZN7rocprim17ROCPRIM_304000_NS6detail18single_scan_kernelILb0ENS1_19wrapped_scan_configINS0_14default_configEiEEPKiPiSt10multipliesIiEiiEEvT1_mT4_T2_T3_, .Lfunc_end23-_ZN7rocprim17ROCPRIM_304000_NS6detail18single_scan_kernelILb0ENS1_19wrapped_scan_configINS0_14default_configEiEEPKiPiSt10multipliesIiEiiEEvT1_mT4_T2_T3_
                                        ; -- End function
	.section	.AMDGPU.csdata,"",@progbits
; Kernel info:
; codeLenInByte = 2924
; NumSgprs: 26
; NumVgprs: 44
; ScratchSize: 0
; MemoryBound: 0
; FloatMode: 240
; IeeeMode: 1
; LDSByteSize: 4224 bytes/workgroup (compile time only)
; SGPRBlocks: 3
; VGPRBlocks: 5
; NumSGPRsForWavesPerEU: 26
; NumVGPRsForWavesPerEU: 44
; Occupancy: 16
; WaveLimiterHint : 0
; COMPUTE_PGM_RSRC2:SCRATCH_EN: 0
; COMPUTE_PGM_RSRC2:USER_SGPR: 15
; COMPUTE_PGM_RSRC2:TRAP_HANDLER: 0
; COMPUTE_PGM_RSRC2:TGID_X_EN: 1
; COMPUTE_PGM_RSRC2:TGID_Y_EN: 0
; COMPUTE_PGM_RSRC2:TGID_Z_EN: 0
; COMPUTE_PGM_RSRC2:TIDIG_COMP_CNT: 0
	.section	.text._ZN2at6native32tensor_kernel_scan_innermost_dimIiSt10multipliesIiEEEvPT_PKS4_jjjS4_T0_,"axG",@progbits,_ZN2at6native32tensor_kernel_scan_innermost_dimIiSt10multipliesIiEEEvPT_PKS4_jjjS4_T0_,comdat
	.protected	_ZN2at6native32tensor_kernel_scan_innermost_dimIiSt10multipliesIiEEEvPT_PKS4_jjjS4_T0_ ; -- Begin function _ZN2at6native32tensor_kernel_scan_innermost_dimIiSt10multipliesIiEEEvPT_PKS4_jjjS4_T0_
	.globl	_ZN2at6native32tensor_kernel_scan_innermost_dimIiSt10multipliesIiEEEvPT_PKS4_jjjS4_T0_
	.p2align	8
	.type	_ZN2at6native32tensor_kernel_scan_innermost_dimIiSt10multipliesIiEEEvPT_PKS4_jjjS4_T0_,@function
_ZN2at6native32tensor_kernel_scan_innermost_dimIiSt10multipliesIiEEEvPT_PKS4_jjjS4_T0_: ; @_ZN2at6native32tensor_kernel_scan_innermost_dimIiSt10multipliesIiEEEvPT_PKS4_jjjS4_T0_
; %bb.0:
	s_load_b256 s[16:23], s[0:1], 0x0
	v_bfe_u32 v9, v0, 10, 10
	s_waitcnt lgkmcnt(0)
	s_lshl_b32 s5, 2, s22
	s_mul_hi_u32 s2, s20, s21
	s_delay_alu instid0(VALU_DEP_1) | instskip(SKIP_3) | instid1(VALU_DEP_1)
	v_mul_lo_u32 v1, s5, v9
	s_mov_b32 s6, s20
	s_cmp_lg_u32 s2, 0
	s_mov_b32 s2, -1
	v_lshl_add_u32 v10, v1, 2, 0
	s_cbranch_scc1 .LBB24_26
; %bb.1:
	s_load_b32 s4, s[0:1], 0x34
	s_add_u32 s2, s0, 40
	s_addc_u32 s3, s1, 0
	s_waitcnt lgkmcnt(0)
	s_lshr_b32 s4, s4, 16
	s_delay_alu instid0(SALU_CYCLE_1) | instskip(NEXT) | instid1(SALU_CYCLE_1)
	s_mul_i32 s7, s15, s4
	s_cmp_ge_u32 s7, s20
	s_cbranch_scc1 .LBB24_25
; %bb.2:
	s_load_b32 s10, s[2:3], 0x0
	v_dual_mov_b32 v2, 0 :: v_dual_and_b32 v5, 0x3ff, v0
	v_add_nc_u32_e32 v6, -4, v10
	s_lshl_b32 s8, 1, s22
	s_cmp_lg_u32 s21, 0
	s_delay_alu instid0(VALU_DEP_2)
	v_lshl_add_u32 v7, v5, 2, v10
	v_cmp_eq_u32_e64 s2, 0, v5
	v_lshl_add_u32 v8, s5, 2, v6
	s_cselect_b32 s9, -1, 0
	s_add_i32 s11, s22, 1
	v_lshl_add_u32 v11, s8, 2, v7
	s_waitcnt lgkmcnt(0)
	s_mul_i32 s10, s10, s4
	s_branch .LBB24_4
.LBB24_3:                               ;   in Loop: Header=BB24_4 Depth=1
	s_add_i32 s7, s7, s10
	s_delay_alu instid0(SALU_CYCLE_1)
	s_cmp_ge_u32 s7, s20
	s_cbranch_scc1 .LBB24_25
.LBB24_4:                               ; =>This Loop Header: Depth=1
                                        ;     Child Loop BB24_7 Depth 2
                                        ;       Child Loop BB24_16 Depth 3
	s_and_not1_b32 vcc_lo, exec_lo, s9
	s_cbranch_vccnz .LBB24_3
; %bb.5:                                ;   in Loop: Header=BB24_4 Depth=1
	v_add_nc_u32_e32 v12, s7, v9
	v_mov_b32_e32 v16, s23
	s_mov_b32 s12, 0
	s_delay_alu instid0(VALU_DEP_2) | instskip(SKIP_2) | instid1(VALU_DEP_3)
	v_mul_lo_u32 v1, v12, s21
	v_cmp_gt_u32_e32 vcc_lo, s20, v12
	v_cmp_le_u32_e64 s3, s20, v12
	v_lshlrev_b64 v[3:4], 2, v[1:2]
	s_delay_alu instid0(VALU_DEP_1) | instskip(NEXT) | instid1(VALU_DEP_1)
	v_add_co_u32 v12, s4, s18, v3
	v_add_co_ci_u32_e64 v13, s4, s19, v4, s4
	v_add_co_u32 v14, s4, s16, v3
	s_delay_alu instid0(VALU_DEP_1)
	v_add_co_ci_u32_e64 v15, s4, s17, v4, s4
	s_branch .LBB24_7
.LBB24_6:                               ;   in Loop: Header=BB24_7 Depth=2
	s_or_b32 exec_lo, exec_lo, s13
	ds_load_b32 v16, v8
	s_add_i32 s12, s12, s5
	s_waitcnt lgkmcnt(0)
	s_waitcnt_vscnt null, 0x0
	s_cmp_ge_u32 s12, s21
	s_barrier
	buffer_gl0_inv
	s_cbranch_scc1 .LBB24_3
.LBB24_7:                               ;   Parent Loop BB24_4 Depth=1
                                        ; =>  This Loop Header: Depth=2
                                        ;       Child Loop BB24_16 Depth 3
	v_add_nc_u32_e32 v1, s12, v5
	s_delay_alu instid0(VALU_DEP_1)
	v_add_nc_u32_e32 v3, s8, v1
	s_and_saveexec_b32 s13, vcc_lo
	s_cbranch_execz .LBB24_14
; %bb.8:                                ;   in Loop: Header=BB24_7 Depth=2
	v_mov_b32_e32 v4, s23
	s_mov_b32 s14, exec_lo
	v_cmpx_gt_u32_e64 s21, v1
	s_cbranch_execz .LBB24_10
; %bb.9:                                ;   in Loop: Header=BB24_7 Depth=2
	v_lshlrev_b64 v[17:18], 2, v[1:2]
	s_delay_alu instid0(VALU_DEP_1) | instskip(NEXT) | instid1(VALU_DEP_1)
	v_add_co_u32 v17, s4, v12, v17
	v_add_co_ci_u32_e64 v18, s4, v13, v18, s4
	global_load_b32 v4, v[17:18], off
.LBB24_10:                              ;   in Loop: Header=BB24_7 Depth=2
	s_or_b32 exec_lo, exec_lo, s14
	v_mov_b32_e32 v17, s23
	s_mov_b32 s14, exec_lo
	s_waitcnt vmcnt(0)
	ds_store_b32 v7, v4
	v_cmpx_gt_u32_e64 s21, v3
	s_cbranch_execz .LBB24_12
; %bb.11:                               ;   in Loop: Header=BB24_7 Depth=2
	v_mov_b32_e32 v4, v2
	s_delay_alu instid0(VALU_DEP_1) | instskip(NEXT) | instid1(VALU_DEP_1)
	v_lshlrev_b64 v[17:18], 2, v[3:4]
	v_add_co_u32 v17, s4, v12, v17
	s_delay_alu instid0(VALU_DEP_1)
	v_add_co_ci_u32_e64 v18, s4, v13, v18, s4
	global_load_b32 v17, v[17:18], off
.LBB24_12:                              ;   in Loop: Header=BB24_7 Depth=2
	s_or_b32 exec_lo, exec_lo, s14
	s_waitcnt vmcnt(0)
	ds_store_b32 v11, v17
	s_and_b32 exec_lo, exec_lo, s2
	s_cbranch_execz .LBB24_14
; %bb.13:                               ;   in Loop: Header=BB24_7 Depth=2
	ds_load_b32 v4, v10
	s_waitcnt lgkmcnt(0)
	v_mul_lo_u32 v4, v4, v16
	ds_store_b32 v10, v4
.LBB24_14:                              ;   in Loop: Header=BB24_7 Depth=2
	s_or_b32 exec_lo, exec_lo, s13
	v_mov_b32_e32 v4, 0
	s_mov_b32 s13, 0
	s_waitcnt lgkmcnt(0)
	s_barrier
	buffer_gl0_inv
	s_set_inst_prefetch_distance 0x1
	s_branch .LBB24_16
	.p2align	6
.LBB24_15:                              ;   in Loop: Header=BB24_16 Depth=3
	s_or_b32 exec_lo, exec_lo, s4
	s_delay_alu instid0(VALU_DEP_1) | instskip(SKIP_4) | instid1(SALU_CYCLE_1)
	v_cmp_eq_u32_e64 s4, s11, v4
	s_waitcnt lgkmcnt(0)
	s_barrier
	buffer_gl0_inv
	s_or_b32 s13, s4, s13
	s_and_not1_b32 exec_lo, exec_lo, s13
	s_cbranch_execz .LBB24_20
.LBB24_16:                              ;   Parent Loop BB24_4 Depth=1
                                        ;     Parent Loop BB24_7 Depth=2
                                        ; =>    This Inner Loop Header: Depth=3
	v_add_nc_u32_e32 v16, 1, v4
	s_and_saveexec_b32 s4, s3
	s_delay_alu instid0(SALU_CYCLE_1)
	s_xor_b32 s4, exec_lo, s4
; %bb.17:                               ;   in Loop: Header=BB24_16 Depth=3
	v_add_nc_u32_e32 v4, 1, v4
                                        ; implicit-def: $vgpr16
; %bb.18:                               ;   in Loop: Header=BB24_16 Depth=3
	s_and_not1_saveexec_b32 s4, s4
	s_cbranch_execz .LBB24_15
; %bb.19:                               ;   in Loop: Header=BB24_16 Depth=3
	s_delay_alu instid0(VALU_DEP_1) | instskip(SKIP_2) | instid1(VALU_DEP_2)
	v_lshlrev_b32_e64 v17, v4, 1
	v_lshrrev_b32_e32 v18, v4, v5
	v_bfm_b32 v4, v4, 0
	v_lshl_or_b32 v17, v18, v16, v17
	s_delay_alu instid0(VALU_DEP_2) | instskip(NEXT) | instid1(VALU_DEP_2)
	v_and_b32_e32 v4, v4, v5
	v_lshlrev_b32_e32 v17, 2, v17
	s_delay_alu instid0(VALU_DEP_2) | instskip(NEXT) | instid1(VALU_DEP_1)
	v_lshlrev_b32_e32 v4, 2, v4
	v_add3_u32 v18, v10, v17, v4
	v_add_nc_u32_e32 v4, v6, v17
	ds_load_b32 v17, v18
	ds_load_b32 v4, v4
	s_waitcnt lgkmcnt(0)
	v_mul_lo_u32 v17, v4, v17
	v_mov_b32_e32 v4, v16
	ds_store_b32 v18, v17
	s_branch .LBB24_15
.LBB24_20:                              ;   in Loop: Header=BB24_7 Depth=2
	s_set_inst_prefetch_distance 0x2
	s_or_b32 exec_lo, exec_lo, s13
	s_and_saveexec_b32 s13, vcc_lo
	s_cbranch_execz .LBB24_6
; %bb.21:                               ;   in Loop: Header=BB24_7 Depth=2
	s_mov_b32 s14, exec_lo
	v_cmpx_gt_u32_e64 s21, v1
	s_cbranch_execz .LBB24_23
; %bb.22:                               ;   in Loop: Header=BB24_7 Depth=2
	ds_load_b32 v4, v7
	v_lshlrev_b64 v[16:17], 2, v[1:2]
	s_delay_alu instid0(VALU_DEP_1) | instskip(NEXT) | instid1(VALU_DEP_1)
	v_add_co_u32 v16, s4, v14, v16
	v_add_co_ci_u32_e64 v17, s4, v15, v17, s4
	s_waitcnt lgkmcnt(0)
	global_store_b32 v[16:17], v4, off
.LBB24_23:                              ;   in Loop: Header=BB24_7 Depth=2
	s_or_b32 exec_lo, exec_lo, s14
	v_cmp_gt_u32_e64 s4, s21, v3
	s_delay_alu instid0(VALU_DEP_1)
	s_and_b32 exec_lo, exec_lo, s4
	s_cbranch_execz .LBB24_6
; %bb.24:                               ;   in Loop: Header=BB24_7 Depth=2
	ds_load_b32 v1, v11
	v_mov_b32_e32 v4, v2
	s_delay_alu instid0(VALU_DEP_1) | instskip(NEXT) | instid1(VALU_DEP_1)
	v_lshlrev_b64 v[3:4], 2, v[3:4]
	v_add_co_u32 v3, s4, v14, v3
	s_delay_alu instid0(VALU_DEP_1)
	v_add_co_ci_u32_e64 v4, s4, v15, v4, s4
	s_waitcnt lgkmcnt(0)
	global_store_b32 v[3:4], v1, off
	s_branch .LBB24_6
.LBB24_25:
	s_mov_b32 s2, 0
.LBB24_26:
	s_delay_alu instid0(SALU_CYCLE_1)
	s_and_not1_b32 vcc_lo, exec_lo, s2
	s_cbranch_vccnz .LBB24_53
; %bb.27:
	s_load_b32 s2, s[0:1], 0x34
	s_add_u32 s0, s0, 40
	s_addc_u32 s1, s1, 0
	s_mov_b32 s7, 0
	s_waitcnt lgkmcnt(0)
	s_lshr_b32 s2, s2, 16
	s_delay_alu instid0(SALU_CYCLE_1) | instskip(SKIP_1) | instid1(SALU_CYCLE_1)
	s_mul_hi_u32 s5, s2, s15
	s_mul_i32 s4, s2, s15
	v_cmp_ge_u64_e64 s3, s[4:5], s[6:7]
	s_delay_alu instid0(VALU_DEP_1)
	s_and_b32 vcc_lo, exec_lo, s3
	s_cbranch_vccnz .LBB24_53
; %bb.28:
	s_load_b32 s1, s[0:1], 0x0
	v_dual_mov_b32 v1, 0 :: v_dual_and_b32 v0, 0x3ff, v0
	s_lshl_b32 s8, 1, s22
	s_and_b32 s2, 0xffff, s2
	s_ashr_i32 s9, s8, 31
	s_cmp_lg_u32 s21, 0
	v_lshl_add_u32 v11, v0, 2, v10
	s_cselect_b32 s3, -1, 0
	s_lshl_b64 s[12:13], s[8:9], 1
	v_cmp_eq_u32_e64 s0, 0, v0
	s_lshl_b32 s11, s12, 2
	v_lshl_add_u32 v13, s8, 2, v11
	v_add3_u32 v12, v10, s11, -4
	s_mov_b32 s10, s21
	s_mov_b32 s11, s7
	s_add_i32 s21, s22, 1
	s_waitcnt lgkmcnt(0)
	s_mul_i32 s20, s1, s2
	s_branch .LBB24_30
.LBB24_29:                              ;   in Loop: Header=BB24_30 Depth=1
	s_add_u32 s4, s4, s20
	s_addc_u32 s5, s5, 0
	s_delay_alu instid0(SALU_CYCLE_1) | instskip(NEXT) | instid1(VALU_DEP_1)
	v_cmp_ge_u64_e64 s1, s[4:5], s[6:7]
	s_and_b32 vcc_lo, exec_lo, s1
	s_cbranch_vccnz .LBB24_53
.LBB24_30:                              ; =>This Loop Header: Depth=1
                                        ;     Child Loop BB24_33 Depth 2
                                        ;       Child Loop BB24_43 Depth 3
	s_and_not1_b32 vcc_lo, exec_lo, s3
	s_cbranch_vccnz .LBB24_29
; %bb.31:                               ;   in Loop: Header=BB24_30 Depth=1
	v_add_co_u32 v2, s1, s4, v9
	s_delay_alu instid0(VALU_DEP_1) | instskip(SKIP_1) | instid1(VALU_DEP_2)
	v_add_co_ci_u32_e64 v3, null, s5, 0, s1
	s_mov_b64 s[14:15], 0
	v_mad_u64_u32 v[4:5], null, v2, s10, 0
	s_delay_alu instid0(VALU_DEP_2) | instskip(SKIP_1) | instid1(VALU_DEP_3)
	v_cmp_gt_u64_e64 s1, s[6:7], v[2:3]
	v_cmp_le_u64_e64 s2, s[6:7], v[2:3]
	v_mad_u64_u32 v[6:7], null, v3, s10, v[5:6]
	s_delay_alu instid0(VALU_DEP_1) | instskip(NEXT) | instid1(VALU_DEP_1)
	v_dual_mov_b32 v5, v6 :: v_dual_mov_b32 v6, s23
	v_lshlrev_b64 v[4:5], 2, v[4:5]
	s_delay_alu instid0(VALU_DEP_1) | instskip(NEXT) | instid1(VALU_DEP_2)
	v_add_co_u32 v14, vcc_lo, s18, v4
	v_add_co_ci_u32_e32 v15, vcc_lo, s19, v5, vcc_lo
	v_add_co_u32 v16, vcc_lo, s16, v4
	v_add_co_ci_u32_e32 v17, vcc_lo, s17, v5, vcc_lo
	s_branch .LBB24_33
.LBB24_32:                              ;   in Loop: Header=BB24_33 Depth=2
	s_or_b32 exec_lo, exec_lo, s22
	ds_load_b32 v6, v12
	s_add_u32 s14, s14, s12
	s_addc_u32 s15, s15, s13
	s_waitcnt lgkmcnt(0)
	s_waitcnt_vscnt null, 0x0
	v_cmp_ge_u64_e64 s22, s[14:15], s[10:11]
	s_barrier
	buffer_gl0_inv
	s_and_b32 vcc_lo, exec_lo, s22
	s_cbranch_vccnz .LBB24_29
.LBB24_33:                              ;   Parent Loop BB24_30 Depth=1
                                        ; =>  This Loop Header: Depth=2
                                        ;       Child Loop BB24_43 Depth 3
	v_add_co_u32 v4, s22, s14, v0
	s_delay_alu instid0(VALU_DEP_1) | instskip(NEXT) | instid1(VALU_DEP_2)
	v_add_co_ci_u32_e64 v5, null, s15, 0, s22
	v_add_co_u32 v2, vcc_lo, v4, s8
	s_delay_alu instid0(VALU_DEP_2)
	v_add_co_ci_u32_e32 v3, vcc_lo, s9, v5, vcc_lo
	s_and_saveexec_b32 s22, s1
	s_cbranch_execz .LBB24_40
; %bb.34:                               ;   in Loop: Header=BB24_33 Depth=2
	v_mov_b32_e32 v7, s23
	s_mov_b32 s24, exec_lo
	v_cmpx_gt_u64_e64 s[10:11], v[4:5]
	s_cbranch_execz .LBB24_36
; %bb.35:                               ;   in Loop: Header=BB24_33 Depth=2
	v_lshlrev_b64 v[7:8], 2, v[4:5]
	s_delay_alu instid0(VALU_DEP_1) | instskip(NEXT) | instid1(VALU_DEP_2)
	v_add_co_u32 v7, vcc_lo, v14, v7
	v_add_co_ci_u32_e32 v8, vcc_lo, v15, v8, vcc_lo
	global_load_b32 v7, v[7:8], off
.LBB24_36:                              ;   in Loop: Header=BB24_33 Depth=2
	s_or_b32 exec_lo, exec_lo, s24
	v_mov_b32_e32 v8, s23
	s_mov_b32 s24, exec_lo
	s_waitcnt vmcnt(0)
	ds_store_b32 v11, v7
	v_cmpx_gt_u64_e64 s[10:11], v[2:3]
	s_cbranch_execz .LBB24_38
; %bb.37:                               ;   in Loop: Header=BB24_33 Depth=2
	v_lshlrev_b64 v[7:8], 2, v[2:3]
	s_delay_alu instid0(VALU_DEP_1) | instskip(NEXT) | instid1(VALU_DEP_2)
	v_add_co_u32 v7, vcc_lo, v14, v7
	v_add_co_ci_u32_e32 v8, vcc_lo, v15, v8, vcc_lo
	global_load_b32 v8, v[7:8], off
.LBB24_38:                              ;   in Loop: Header=BB24_33 Depth=2
	s_or_b32 exec_lo, exec_lo, s24
	s_waitcnt vmcnt(0)
	ds_store_b32 v13, v8
	s_and_b32 exec_lo, exec_lo, s0
	s_cbranch_execz .LBB24_40
; %bb.39:                               ;   in Loop: Header=BB24_33 Depth=2
	ds_load_b32 v7, v10
	s_waitcnt lgkmcnt(0)
	v_mul_lo_u32 v6, v7, v6
	ds_store_b32 v10, v6
.LBB24_40:                              ;   in Loop: Header=BB24_33 Depth=2
	s_or_b32 exec_lo, exec_lo, s22
	v_mov_b32_e32 v19, 0
	s_mov_b32 s22, 0
	s_waitcnt lgkmcnt(0)
	s_barrier
	buffer_gl0_inv
	s_branch .LBB24_43
.LBB24_41:                              ;   in Loop: Header=BB24_43 Depth=3
	s_or_b32 exec_lo, exec_lo, s25
	v_lshrrev_b32_e32 v8, v19, v0
	s_delay_alu instid0(VALU_DEP_1) | instskip(NEXT) | instid1(VALU_DEP_1)
	v_lshl_or_b32 v6, v8, v18, v6
	v_lshl_add_u32 v6, v6, 2, v10
	s_delay_alu instid0(VALU_DEP_1)
	v_lshl_add_u32 v7, v7, 2, v6
	v_add_nc_u32_e32 v6, -4, v6
	ds_load_b32 v8, v7
	ds_load_b32 v6, v6
	s_waitcnt lgkmcnt(0)
	v_mul_lo_u32 v6, v6, v8
	ds_store_b32 v7, v6
.LBB24_42:                              ;   in Loop: Header=BB24_43 Depth=3
	s_or_b32 exec_lo, exec_lo, s24
	s_delay_alu instid0(VALU_DEP_1)
	v_cmp_eq_u32_e32 vcc_lo, s21, v18
	v_mov_b32_e32 v19, v18
	s_waitcnt lgkmcnt(0)
	s_barrier
	buffer_gl0_inv
	s_or_b32 s22, vcc_lo, s22
	s_delay_alu instid0(SALU_CYCLE_1)
	s_and_not1_b32 exec_lo, exec_lo, s22
	s_cbranch_execz .LBB24_48
.LBB24_43:                              ;   Parent Loop BB24_30 Depth=1
                                        ;     Parent Loop BB24_33 Depth=2
                                        ; =>    This Inner Loop Header: Depth=3
	v_add_nc_u32_e32 v18, 1, v19
	s_and_saveexec_b32 s24, s2
	s_delay_alu instid0(SALU_CYCLE_1)
	s_xor_b32 s24, exec_lo, s24
; %bb.44:                               ;   in Loop: Header=BB24_43 Depth=3
	v_add_nc_u32_e32 v18, 1, v19
                                        ; implicit-def: $vgpr19
; %bb.45:                               ;   in Loop: Header=BB24_43 Depth=3
	s_and_not1_saveexec_b32 s24, s24
	s_cbranch_execz .LBB24_42
; %bb.46:                               ;   in Loop: Header=BB24_43 Depth=3
	v_lshlrev_b32_e64 v6, v19, 1
	s_delay_alu instid0(VALU_DEP_1) | instskip(NEXT) | instid1(VALU_DEP_1)
	v_ashrrev_i32_e32 v7, 31, v6
	v_cmp_ge_u64_e32 vcc_lo, v[0:1], v[6:7]
	v_dual_mov_b32 v8, v1 :: v_dual_mov_b32 v7, v0
	s_and_saveexec_b32 s25, vcc_lo
	s_cbranch_execz .LBB24_41
; %bb.47:                               ;   in Loop: Header=BB24_43 Depth=3
	v_cvt_f32_u32_e32 v7, v6
	v_sub_nc_u32_e32 v8, 0, v6
	s_delay_alu instid0(VALU_DEP_2) | instskip(SKIP_2) | instid1(VALU_DEP_1)
	v_rcp_iflag_f32_e32 v7, v7
	s_waitcnt_depctr 0xfff
	v_mul_f32_e32 v7, 0x4f7ffffe, v7
	v_cvt_u32_f32_e32 v7, v7
	s_delay_alu instid0(VALU_DEP_1) | instskip(NEXT) | instid1(VALU_DEP_1)
	v_mul_lo_u32 v8, v8, v7
	v_mul_hi_u32 v8, v7, v8
	s_delay_alu instid0(VALU_DEP_1) | instskip(NEXT) | instid1(VALU_DEP_1)
	v_add_nc_u32_e32 v7, v7, v8
	v_mul_hi_u32 v7, v0, v7
	s_delay_alu instid0(VALU_DEP_1) | instskip(NEXT) | instid1(VALU_DEP_1)
	v_mul_lo_u32 v7, v7, v6
	v_sub_nc_u32_e32 v7, v0, v7
	s_delay_alu instid0(VALU_DEP_1) | instskip(SKIP_1) | instid1(VALU_DEP_2)
	v_sub_nc_u32_e32 v8, v7, v6
	v_cmp_ge_u32_e32 vcc_lo, v7, v6
	v_cndmask_b32_e32 v7, v7, v8, vcc_lo
	s_delay_alu instid0(VALU_DEP_1) | instskip(SKIP_1) | instid1(VALU_DEP_2)
	v_sub_nc_u32_e32 v8, v7, v6
	v_cmp_ge_u32_e32 vcc_lo, v7, v6
	v_cndmask_b32_e32 v7, v7, v8, vcc_lo
	s_branch .LBB24_41
.LBB24_48:                              ;   in Loop: Header=BB24_33 Depth=2
	s_or_b32 exec_lo, exec_lo, s22
	s_and_saveexec_b32 s22, s1
	s_cbranch_execz .LBB24_32
; %bb.49:                               ;   in Loop: Header=BB24_33 Depth=2
	s_mov_b32 s24, exec_lo
	v_cmpx_gt_u64_e64 s[10:11], v[4:5]
	s_cbranch_execz .LBB24_51
; %bb.50:                               ;   in Loop: Header=BB24_33 Depth=2
	ds_load_b32 v6, v11
	v_lshlrev_b64 v[4:5], 2, v[4:5]
	s_delay_alu instid0(VALU_DEP_1) | instskip(NEXT) | instid1(VALU_DEP_2)
	v_add_co_u32 v4, vcc_lo, v16, v4
	v_add_co_ci_u32_e32 v5, vcc_lo, v17, v5, vcc_lo
	s_waitcnt lgkmcnt(0)
	global_store_b32 v[4:5], v6, off
.LBB24_51:                              ;   in Loop: Header=BB24_33 Depth=2
	s_or_b32 exec_lo, exec_lo, s24
	v_cmp_gt_u64_e32 vcc_lo, s[10:11], v[2:3]
	s_and_b32 exec_lo, exec_lo, vcc_lo
	s_cbranch_execz .LBB24_32
; %bb.52:                               ;   in Loop: Header=BB24_33 Depth=2
	ds_load_b32 v4, v13
	v_lshlrev_b64 v[2:3], 2, v[2:3]
	s_delay_alu instid0(VALU_DEP_1) | instskip(NEXT) | instid1(VALU_DEP_2)
	v_add_co_u32 v2, vcc_lo, v16, v2
	v_add_co_ci_u32_e32 v3, vcc_lo, v17, v3, vcc_lo
	s_waitcnt lgkmcnt(0)
	global_store_b32 v[2:3], v4, off
	s_branch .LBB24_32
.LBB24_53:
	s_endpgm
	.section	.rodata,"a",@progbits
	.p2align	6, 0x0
	.amdhsa_kernel _ZN2at6native32tensor_kernel_scan_innermost_dimIiSt10multipliesIiEEEvPT_PKS4_jjjS4_T0_
		.amdhsa_group_segment_fixed_size 0
		.amdhsa_private_segment_fixed_size 0
		.amdhsa_kernarg_size 296
		.amdhsa_user_sgpr_count 15
		.amdhsa_user_sgpr_dispatch_ptr 0
		.amdhsa_user_sgpr_queue_ptr 0
		.amdhsa_user_sgpr_kernarg_segment_ptr 1
		.amdhsa_user_sgpr_dispatch_id 0
		.amdhsa_user_sgpr_private_segment_size 0
		.amdhsa_wavefront_size32 1
		.amdhsa_uses_dynamic_stack 0
		.amdhsa_enable_private_segment 0
		.amdhsa_system_sgpr_workgroup_id_x 1
		.amdhsa_system_sgpr_workgroup_id_y 0
		.amdhsa_system_sgpr_workgroup_id_z 0
		.amdhsa_system_sgpr_workgroup_info 0
		.amdhsa_system_vgpr_workitem_id 1
		.amdhsa_next_free_vgpr 20
		.amdhsa_next_free_sgpr 26
		.amdhsa_reserve_vcc 1
		.amdhsa_float_round_mode_32 0
		.amdhsa_float_round_mode_16_64 0
		.amdhsa_float_denorm_mode_32 3
		.amdhsa_float_denorm_mode_16_64 3
		.amdhsa_dx10_clamp 1
		.amdhsa_ieee_mode 1
		.amdhsa_fp16_overflow 0
		.amdhsa_workgroup_processor_mode 1
		.amdhsa_memory_ordered 1
		.amdhsa_forward_progress 0
		.amdhsa_shared_vgpr_count 0
		.amdhsa_exception_fp_ieee_invalid_op 0
		.amdhsa_exception_fp_denorm_src 0
		.amdhsa_exception_fp_ieee_div_zero 0
		.amdhsa_exception_fp_ieee_overflow 0
		.amdhsa_exception_fp_ieee_underflow 0
		.amdhsa_exception_fp_ieee_inexact 0
		.amdhsa_exception_int_div_zero 0
	.end_amdhsa_kernel
	.section	.text._ZN2at6native32tensor_kernel_scan_innermost_dimIiSt10multipliesIiEEEvPT_PKS4_jjjS4_T0_,"axG",@progbits,_ZN2at6native32tensor_kernel_scan_innermost_dimIiSt10multipliesIiEEEvPT_PKS4_jjjS4_T0_,comdat
.Lfunc_end24:
	.size	_ZN2at6native32tensor_kernel_scan_innermost_dimIiSt10multipliesIiEEEvPT_PKS4_jjjS4_T0_, .Lfunc_end24-_ZN2at6native32tensor_kernel_scan_innermost_dimIiSt10multipliesIiEEEvPT_PKS4_jjjS4_T0_
                                        ; -- End function
	.section	.AMDGPU.csdata,"",@progbits
; Kernel info:
; codeLenInByte = 2024
; NumSgprs: 28
; NumVgprs: 20
; ScratchSize: 0
; MemoryBound: 0
; FloatMode: 240
; IeeeMode: 1
; LDSByteSize: 0 bytes/workgroup (compile time only)
; SGPRBlocks: 3
; VGPRBlocks: 2
; NumSGPRsForWavesPerEU: 28
; NumVGPRsForWavesPerEU: 20
; Occupancy: 16
; WaveLimiterHint : 0
; COMPUTE_PGM_RSRC2:SCRATCH_EN: 0
; COMPUTE_PGM_RSRC2:USER_SGPR: 15
; COMPUTE_PGM_RSRC2:TRAP_HANDLER: 0
; COMPUTE_PGM_RSRC2:TGID_X_EN: 1
; COMPUTE_PGM_RSRC2:TGID_Y_EN: 0
; COMPUTE_PGM_RSRC2:TGID_Z_EN: 0
; COMPUTE_PGM_RSRC2:TIDIG_COMP_CNT: 1
	.section	.text._ZN2at6native28tensor_kernel_scan_outer_dimIijSt10multipliesIiEEEvPT_PKS4_jjjS4_T1_,"axG",@progbits,_ZN2at6native28tensor_kernel_scan_outer_dimIijSt10multipliesIiEEEvPT_PKS4_jjjS4_T1_,comdat
	.protected	_ZN2at6native28tensor_kernel_scan_outer_dimIijSt10multipliesIiEEEvPT_PKS4_jjjS4_T1_ ; -- Begin function _ZN2at6native28tensor_kernel_scan_outer_dimIijSt10multipliesIiEEEvPT_PKS4_jjjS4_T1_
	.globl	_ZN2at6native28tensor_kernel_scan_outer_dimIijSt10multipliesIiEEEvPT_PKS4_jjjS4_T1_
	.p2align	8
	.type	_ZN2at6native28tensor_kernel_scan_outer_dimIijSt10multipliesIiEEEvPT_PKS4_jjjS4_T1_,@function
_ZN2at6native28tensor_kernel_scan_outer_dimIijSt10multipliesIiEEEvPT_PKS4_jjjS4_T1_: ; @_ZN2at6native28tensor_kernel_scan_outer_dimIijSt10multipliesIiEEEvPT_PKS4_jjjS4_T1_
; %bb.0:
	s_load_b128 s[4:7], s[0:1], 0x10
	s_waitcnt lgkmcnt(0)
	s_cmp_ge_u32 s14, s4
	s_cbranch_scc1 .LBB25_9
; %bb.1:
	s_clause 0x2
	s_load_b32 s12, s[0:1], 0x34
	s_load_b32 s20, s[0:1], 0x28
	s_load_b128 s[8:11], s[0:1], 0x0
	s_add_u32 s2, s0, 40
	s_addc_u32 s3, s1, 0
	s_mul_i32 s0, s14, s6
	v_mov_b32_e32 v3, 0
	s_mul_i32 s18, s0, s5
	s_mov_b32 s13, 0
	s_waitcnt lgkmcnt(0)
	s_and_b32 s1, s12, 0xffff
	s_mov_b32 s12, s5
	v_mad_u64_u32 v[1:2], null, s15, s1, v[0:1]
	s_cmp_lg_u32 s6, 0
	s_mul_i32 s21, s20, s6
	s_cselect_b32 s15, -1, 0
	s_mul_i32 s21, s21, s5
	s_lshl_b64 s[16:17], s[12:13], 2
	s_mov_b32 s12, s18
	s_delay_alu instid0(VALU_DEP_1)
	v_cmp_gt_u32_e64 s0, s5, v1
	s_set_inst_prefetch_distance 0x1
	s_branch .LBB25_3
	.p2align	6
.LBB25_2:                               ;   in Loop: Header=BB25_3 Depth=1
	s_or_b32 exec_lo, exec_lo, s22
	s_add_i32 s14, s20, s14
	s_add_i32 s12, s12, s21
	s_cmp_ge_u32 s14, s4
	s_cbranch_scc1 .LBB25_9
.LBB25_3:                               ; =>This Loop Header: Depth=1
                                        ;     Child Loop BB25_6 Depth 2
                                        ;       Child Loop BB25_8 Depth 3
	s_delay_alu instid0(VALU_DEP_1)
	s_and_saveexec_b32 s22, s0
	s_cbranch_execz .LBB25_2
; %bb.4:                                ;   in Loop: Header=BB25_3 Depth=1
	s_load_b32 s23, s[2:3], 0x4
	v_mov_b32_e32 v2, v1
	s_lshl_b64 s[18:19], s[12:13], 2
	s_mov_b32 s24, 0
	s_waitcnt lgkmcnt(0)
	s_mul_i32 s23, s23, s1
	s_branch .LBB25_6
	.p2align	6
.LBB25_5:                               ;   in Loop: Header=BB25_6 Depth=2
	v_add_nc_u32_e32 v2, s23, v2
	s_delay_alu instid0(VALU_DEP_1) | instskip(SKIP_1) | instid1(SALU_CYCLE_1)
	v_cmp_le_u32_e32 vcc_lo, s5, v2
	s_or_b32 s24, vcc_lo, s24
	s_and_not1_b32 exec_lo, exec_lo, s24
	s_cbranch_execz .LBB25_2
.LBB25_6:                               ;   Parent Loop BB25_3 Depth=1
                                        ; =>  This Loop Header: Depth=2
                                        ;       Child Loop BB25_8 Depth 3
	s_and_not1_b32 vcc_lo, exec_lo, s15
	s_cbranch_vccnz .LBB25_5
; %bb.7:                                ;   in Loop: Header=BB25_6 Depth=2
	v_lshlrev_b64 v[4:5], 2, v[2:3]
	s_mov_b32 s25, s6
	s_delay_alu instid0(VALU_DEP_1) | instskip(NEXT) | instid1(VALU_DEP_2)
	v_add_co_u32 v0, vcc_lo, s18, v4
	v_add_co_ci_u32_e32 v4, vcc_lo, s19, v5, vcc_lo
	v_mov_b32_e32 v5, s7
	.p2align	6
.LBB25_8:                               ;   Parent Loop BB25_3 Depth=1
                                        ;     Parent Loop BB25_6 Depth=2
                                        ; =>    This Inner Loop Header: Depth=3
	s_delay_alu instid0(VALU_DEP_3) | instskip(NEXT) | instid1(VALU_DEP_3)
	v_add_co_u32 v6, vcc_lo, s10, v0
	v_add_co_ci_u32_e32 v7, vcc_lo, s11, v4, vcc_lo
	s_add_i32 s25, s25, -1
	s_delay_alu instid0(SALU_CYCLE_1)
	s_cmp_eq_u32 s25, 0
	global_load_b32 v8, v[6:7], off
	v_add_co_u32 v6, vcc_lo, s8, v0
	v_add_co_ci_u32_e32 v7, vcc_lo, s9, v4, vcc_lo
	v_add_co_u32 v0, vcc_lo, v0, s16
	v_add_co_ci_u32_e32 v4, vcc_lo, s17, v4, vcc_lo
	s_waitcnt vmcnt(0)
	v_mul_lo_u32 v5, v8, v5
	global_store_b32 v[6:7], v5, off
	s_cbranch_scc0 .LBB25_8
	s_branch .LBB25_5
.LBB25_9:
	s_set_inst_prefetch_distance 0x2
	s_nop 0
	s_sendmsg sendmsg(MSG_DEALLOC_VGPRS)
	s_endpgm
	.section	.rodata,"a",@progbits
	.p2align	6, 0x0
	.amdhsa_kernel _ZN2at6native28tensor_kernel_scan_outer_dimIijSt10multipliesIiEEEvPT_PKS4_jjjS4_T1_
		.amdhsa_group_segment_fixed_size 0
		.amdhsa_private_segment_fixed_size 0
		.amdhsa_kernarg_size 296
		.amdhsa_user_sgpr_count 14
		.amdhsa_user_sgpr_dispatch_ptr 0
		.amdhsa_user_sgpr_queue_ptr 0
		.amdhsa_user_sgpr_kernarg_segment_ptr 1
		.amdhsa_user_sgpr_dispatch_id 0
		.amdhsa_user_sgpr_private_segment_size 0
		.amdhsa_wavefront_size32 1
		.amdhsa_uses_dynamic_stack 0
		.amdhsa_enable_private_segment 0
		.amdhsa_system_sgpr_workgroup_id_x 1
		.amdhsa_system_sgpr_workgroup_id_y 1
		.amdhsa_system_sgpr_workgroup_id_z 0
		.amdhsa_system_sgpr_workgroup_info 0
		.amdhsa_system_vgpr_workitem_id 0
		.amdhsa_next_free_vgpr 9
		.amdhsa_next_free_sgpr 26
		.amdhsa_reserve_vcc 1
		.amdhsa_float_round_mode_32 0
		.amdhsa_float_round_mode_16_64 0
		.amdhsa_float_denorm_mode_32 3
		.amdhsa_float_denorm_mode_16_64 3
		.amdhsa_dx10_clamp 1
		.amdhsa_ieee_mode 1
		.amdhsa_fp16_overflow 0
		.amdhsa_workgroup_processor_mode 1
		.amdhsa_memory_ordered 1
		.amdhsa_forward_progress 0
		.amdhsa_shared_vgpr_count 0
		.amdhsa_exception_fp_ieee_invalid_op 0
		.amdhsa_exception_fp_denorm_src 0
		.amdhsa_exception_fp_ieee_div_zero 0
		.amdhsa_exception_fp_ieee_overflow 0
		.amdhsa_exception_fp_ieee_underflow 0
		.amdhsa_exception_fp_ieee_inexact 0
		.amdhsa_exception_int_div_zero 0
	.end_amdhsa_kernel
	.section	.text._ZN2at6native28tensor_kernel_scan_outer_dimIijSt10multipliesIiEEEvPT_PKS4_jjjS4_T1_,"axG",@progbits,_ZN2at6native28tensor_kernel_scan_outer_dimIijSt10multipliesIiEEEvPT_PKS4_jjjS4_T1_,comdat
.Lfunc_end25:
	.size	_ZN2at6native28tensor_kernel_scan_outer_dimIijSt10multipliesIiEEEvPT_PKS4_jjjS4_T1_, .Lfunc_end25-_ZN2at6native28tensor_kernel_scan_outer_dimIijSt10multipliesIiEEEvPT_PKS4_jjjS4_T1_
                                        ; -- End function
	.section	.AMDGPU.csdata,"",@progbits
; Kernel info:
; codeLenInByte = 372
; NumSgprs: 28
; NumVgprs: 9
; ScratchSize: 0
; MemoryBound: 0
; FloatMode: 240
; IeeeMode: 1
; LDSByteSize: 0 bytes/workgroup (compile time only)
; SGPRBlocks: 3
; VGPRBlocks: 1
; NumSGPRsForWavesPerEU: 28
; NumVGPRsForWavesPerEU: 9
; Occupancy: 16
; WaveLimiterHint : 0
; COMPUTE_PGM_RSRC2:SCRATCH_EN: 0
; COMPUTE_PGM_RSRC2:USER_SGPR: 14
; COMPUTE_PGM_RSRC2:TRAP_HANDLER: 0
; COMPUTE_PGM_RSRC2:TGID_X_EN: 1
; COMPUTE_PGM_RSRC2:TGID_Y_EN: 1
; COMPUTE_PGM_RSRC2:TGID_Z_EN: 0
; COMPUTE_PGM_RSRC2:TIDIG_COMP_CNT: 0
	.section	.text._ZN2at6native28tensor_kernel_scan_outer_dimIimSt10multipliesIiEEEvPT_PKS4_jjjS4_T1_,"axG",@progbits,_ZN2at6native28tensor_kernel_scan_outer_dimIimSt10multipliesIiEEEvPT_PKS4_jjjS4_T1_,comdat
	.protected	_ZN2at6native28tensor_kernel_scan_outer_dimIimSt10multipliesIiEEEvPT_PKS4_jjjS4_T1_ ; -- Begin function _ZN2at6native28tensor_kernel_scan_outer_dimIimSt10multipliesIiEEEvPT_PKS4_jjjS4_T1_
	.globl	_ZN2at6native28tensor_kernel_scan_outer_dimIimSt10multipliesIiEEEvPT_PKS4_jjjS4_T1_
	.p2align	8
	.type	_ZN2at6native28tensor_kernel_scan_outer_dimIimSt10multipliesIiEEEvPT_PKS4_jjjS4_T1_,@function
_ZN2at6native28tensor_kernel_scan_outer_dimIimSt10multipliesIiEEEvPT_PKS4_jjjS4_T1_: ; @_ZN2at6native28tensor_kernel_scan_outer_dimIimSt10multipliesIiEEEvPT_PKS4_jjjS4_T1_
; %bb.0:
	s_load_b128 s[4:7], s[0:1], 0x10
	s_waitcnt lgkmcnt(0)
	s_cmp_ge_u32 s14, s4
	s_cbranch_scc1 .LBB26_9
; %bb.1:
	s_clause 0x2
	s_load_b32 s12, s[0:1], 0x34
	s_load_b128 s[8:11], s[0:1], 0x0
	s_load_b32 s18, s[0:1], 0x28
	s_add_u32 s2, s0, 40
	s_addc_u32 s3, s1, 0
	v_mov_b32_e32 v3, 0
	s_mov_b32 s17, 0
	s_mul_hi_u32 s13, s6, s5
	s_mov_b32 s16, s5
	s_waitcnt lgkmcnt(0)
	s_and_b32 s1, s12, 0xffff
	s_cmp_lg_u32 s6, 0
	v_mad_u64_u32 v[1:2], null, s15, s1, v[0:1]
	s_mul_i32 s12, s6, s5
	s_cselect_b32 s15, -1, 0
	s_lshl_b64 s[12:13], s[12:13], 2
	s_lshl_b64 s[16:17], s[16:17], 2
	s_delay_alu instid0(VALU_DEP_1)
	v_cmp_gt_u32_e64 s0, s5, v1
	s_branch .LBB26_3
.LBB26_2:                               ;   in Loop: Header=BB26_3 Depth=1
	s_set_inst_prefetch_distance 0x2
	s_or_b32 exec_lo, exec_lo, s19
	s_add_i32 s14, s14, s18
	s_delay_alu instid0(SALU_CYCLE_1)
	s_cmp_ge_u32 s14, s4
	s_cbranch_scc1 .LBB26_9
.LBB26_3:                               ; =>This Loop Header: Depth=1
                                        ;     Child Loop BB26_6 Depth 2
                                        ;       Child Loop BB26_8 Depth 3
	s_delay_alu instid0(VALU_DEP_1)
	s_and_saveexec_b32 s19, s0
	s_cbranch_execz .LBB26_2
; %bb.4:                                ;   in Loop: Header=BB26_3 Depth=1
	s_load_b32 s22, s[2:3], 0x4
	v_mov_b32_e32 v2, v1
	s_mul_i32 s21, s13, s14
	s_mul_hi_u32 s23, s12, s14
	s_mul_i32 s20, s12, s14
	s_add_i32 s21, s23, s21
	s_mov_b32 s23, 0
	s_waitcnt lgkmcnt(0)
	s_mul_i32 s22, s22, s1
	s_set_inst_prefetch_distance 0x1
	s_branch .LBB26_6
	.p2align	6
.LBB26_5:                               ;   in Loop: Header=BB26_6 Depth=2
	v_add_nc_u32_e32 v2, s22, v2
	s_delay_alu instid0(VALU_DEP_1) | instskip(SKIP_1) | instid1(SALU_CYCLE_1)
	v_cmp_le_u32_e32 vcc_lo, s5, v2
	s_or_b32 s23, vcc_lo, s23
	s_and_not1_b32 exec_lo, exec_lo, s23
	s_cbranch_execz .LBB26_2
.LBB26_6:                               ;   Parent Loop BB26_3 Depth=1
                                        ; =>  This Loop Header: Depth=2
                                        ;       Child Loop BB26_8 Depth 3
	s_and_not1_b32 vcc_lo, exec_lo, s15
	s_cbranch_vccnz .LBB26_5
; %bb.7:                                ;   in Loop: Header=BB26_6 Depth=2
	v_lshlrev_b64 v[4:5], 2, v[2:3]
	s_mov_b32 s24, s6
	s_delay_alu instid0(VALU_DEP_1) | instskip(NEXT) | instid1(VALU_DEP_2)
	v_add_co_u32 v0, vcc_lo, s20, v4
	v_add_co_ci_u32_e32 v4, vcc_lo, s21, v5, vcc_lo
	v_mov_b32_e32 v5, s7
	.p2align	6
.LBB26_8:                               ;   Parent Loop BB26_3 Depth=1
                                        ;     Parent Loop BB26_6 Depth=2
                                        ; =>    This Inner Loop Header: Depth=3
	s_delay_alu instid0(VALU_DEP_3) | instskip(NEXT) | instid1(VALU_DEP_3)
	v_add_co_u32 v6, vcc_lo, s10, v0
	v_add_co_ci_u32_e32 v7, vcc_lo, s11, v4, vcc_lo
	s_add_i32 s24, s24, -1
	s_delay_alu instid0(SALU_CYCLE_1)
	s_cmp_eq_u32 s24, 0
	global_load_b32 v8, v[6:7], off
	v_add_co_u32 v6, vcc_lo, s8, v0
	v_add_co_ci_u32_e32 v7, vcc_lo, s9, v4, vcc_lo
	v_add_co_u32 v0, vcc_lo, v0, s16
	v_add_co_ci_u32_e32 v4, vcc_lo, s17, v4, vcc_lo
	s_waitcnt vmcnt(0)
	v_mul_lo_u32 v5, v8, v5
	global_store_b32 v[6:7], v5, off
	s_cbranch_scc0 .LBB26_8
	s_branch .LBB26_5
.LBB26_9:
	s_nop 0
	s_sendmsg sendmsg(MSG_DEALLOC_VGPRS)
	s_endpgm
	.section	.rodata,"a",@progbits
	.p2align	6, 0x0
	.amdhsa_kernel _ZN2at6native28tensor_kernel_scan_outer_dimIimSt10multipliesIiEEEvPT_PKS4_jjjS4_T1_
		.amdhsa_group_segment_fixed_size 0
		.amdhsa_private_segment_fixed_size 0
		.amdhsa_kernarg_size 296
		.amdhsa_user_sgpr_count 14
		.amdhsa_user_sgpr_dispatch_ptr 0
		.amdhsa_user_sgpr_queue_ptr 0
		.amdhsa_user_sgpr_kernarg_segment_ptr 1
		.amdhsa_user_sgpr_dispatch_id 0
		.amdhsa_user_sgpr_private_segment_size 0
		.amdhsa_wavefront_size32 1
		.amdhsa_uses_dynamic_stack 0
		.amdhsa_enable_private_segment 0
		.amdhsa_system_sgpr_workgroup_id_x 1
		.amdhsa_system_sgpr_workgroup_id_y 1
		.amdhsa_system_sgpr_workgroup_id_z 0
		.amdhsa_system_sgpr_workgroup_info 0
		.amdhsa_system_vgpr_workitem_id 0
		.amdhsa_next_free_vgpr 9
		.amdhsa_next_free_sgpr 25
		.amdhsa_reserve_vcc 1
		.amdhsa_float_round_mode_32 0
		.amdhsa_float_round_mode_16_64 0
		.amdhsa_float_denorm_mode_32 3
		.amdhsa_float_denorm_mode_16_64 3
		.amdhsa_dx10_clamp 1
		.amdhsa_ieee_mode 1
		.amdhsa_fp16_overflow 0
		.amdhsa_workgroup_processor_mode 1
		.amdhsa_memory_ordered 1
		.amdhsa_forward_progress 0
		.amdhsa_shared_vgpr_count 0
		.amdhsa_exception_fp_ieee_invalid_op 0
		.amdhsa_exception_fp_denorm_src 0
		.amdhsa_exception_fp_ieee_div_zero 0
		.amdhsa_exception_fp_ieee_overflow 0
		.amdhsa_exception_fp_ieee_underflow 0
		.amdhsa_exception_fp_ieee_inexact 0
		.amdhsa_exception_int_div_zero 0
	.end_amdhsa_kernel
	.section	.text._ZN2at6native28tensor_kernel_scan_outer_dimIimSt10multipliesIiEEEvPT_PKS4_jjjS4_T1_,"axG",@progbits,_ZN2at6native28tensor_kernel_scan_outer_dimIimSt10multipliesIiEEEvPT_PKS4_jjjS4_T1_,comdat
.Lfunc_end26:
	.size	_ZN2at6native28tensor_kernel_scan_outer_dimIimSt10multipliesIiEEEvPT_PKS4_jjjS4_T1_, .Lfunc_end26-_ZN2at6native28tensor_kernel_scan_outer_dimIimSt10multipliesIiEEEvPT_PKS4_jjjS4_T1_
                                        ; -- End function
	.section	.AMDGPU.csdata,"",@progbits
; Kernel info:
; codeLenInByte = 376
; NumSgprs: 27
; NumVgprs: 9
; ScratchSize: 0
; MemoryBound: 0
; FloatMode: 240
; IeeeMode: 1
; LDSByteSize: 0 bytes/workgroup (compile time only)
; SGPRBlocks: 3
; VGPRBlocks: 1
; NumSGPRsForWavesPerEU: 27
; NumVGPRsForWavesPerEU: 9
; Occupancy: 16
; WaveLimiterHint : 0
; COMPUTE_PGM_RSRC2:SCRATCH_EN: 0
; COMPUTE_PGM_RSRC2:USER_SGPR: 14
; COMPUTE_PGM_RSRC2:TRAP_HANDLER: 0
; COMPUTE_PGM_RSRC2:TGID_X_EN: 1
; COMPUTE_PGM_RSRC2:TGID_Y_EN: 1
; COMPUTE_PGM_RSRC2:TGID_Z_EN: 0
; COMPUTE_PGM_RSRC2:TIDIG_COMP_CNT: 0
	.section	.text._ZN7rocprim17ROCPRIM_304000_NS6detail31init_lookback_scan_state_kernelINS1_19lookback_scan_stateIlLb1ELb1EEEEEvT_jjPNS5_10value_typeE,"axG",@progbits,_ZN7rocprim17ROCPRIM_304000_NS6detail31init_lookback_scan_state_kernelINS1_19lookback_scan_stateIlLb1ELb1EEEEEvT_jjPNS5_10value_typeE,comdat
	.protected	_ZN7rocprim17ROCPRIM_304000_NS6detail31init_lookback_scan_state_kernelINS1_19lookback_scan_stateIlLb1ELb1EEEEEvT_jjPNS5_10value_typeE ; -- Begin function _ZN7rocprim17ROCPRIM_304000_NS6detail31init_lookback_scan_state_kernelINS1_19lookback_scan_stateIlLb1ELb1EEEEEvT_jjPNS5_10value_typeE
	.globl	_ZN7rocprim17ROCPRIM_304000_NS6detail31init_lookback_scan_state_kernelINS1_19lookback_scan_stateIlLb1ELb1EEEEEvT_jjPNS5_10value_typeE
	.p2align	8
	.type	_ZN7rocprim17ROCPRIM_304000_NS6detail31init_lookback_scan_state_kernelINS1_19lookback_scan_stateIlLb1ELb1EEEEEvT_jjPNS5_10value_typeE,@function
_ZN7rocprim17ROCPRIM_304000_NS6detail31init_lookback_scan_state_kernelINS1_19lookback_scan_stateIlLb1ELb1EEEEEvT_jjPNS5_10value_typeE: ; @_ZN7rocprim17ROCPRIM_304000_NS6detail31init_lookback_scan_state_kernelINS1_19lookback_scan_stateIlLb1ELb1EEEEEvT_jjPNS5_10value_typeE
; %bb.0:
	s_clause 0x2
	s_load_b32 s6, s[0:1], 0x24
	s_load_b64 s[4:5], s[0:1], 0x10
	s_load_b128 s[0:3], s[0:1], 0x0
	s_waitcnt lgkmcnt(0)
	s_and_b32 s6, s6, 0xffff
	s_cmp_eq_u64 s[4:5], 0
	v_mad_u64_u32 v[1:2], null, s15, s6, v[0:1]
	s_cbranch_scc1 .LBB27_10
; %bb.1:
	s_cmp_lt_u32 s3, s2
	s_mov_b32 s7, 0
	s_cselect_b32 s6, s3, 0
	s_mov_b32 s8, exec_lo
	s_delay_alu instid0(VALU_DEP_1)
	v_cmpx_eq_u32_e64 s6, v1
	s_cbranch_execz .LBB27_9
; %bb.2:
	s_add_i32 s6, s3, 32
	s_mov_b32 s3, exec_lo
	s_lshl_b64 s[6:7], s[6:7], 4
	v_mov_b32_e32 v6, 0
	s_add_u32 s6, s0, s6
	s_addc_u32 s7, s1, s7
	s_delay_alu instid0(SALU_CYCLE_1) | instskip(SKIP_2) | instid1(VALU_DEP_1)
	v_dual_mov_b32 v2, s6 :: v_dual_mov_b32 v3, s7
	;;#ASMSTART
	global_load_dwordx4 v[2:5], v[2:3] off glc	
s_waitcnt vmcnt(0)
	;;#ASMEND
	v_and_b32_e32 v5, 0xff, v4
	v_cmpx_eq_u64_e32 0, v[5:6]
	s_cbranch_execz .LBB27_8
; %bb.3:
	v_dual_mov_b32 v8, s7 :: v_dual_mov_b32 v7, s6
	s_mov_b32 s7, 1
	s_mov_b32 s6, 0
	.p2align	6
.LBB27_4:                               ; =>This Loop Header: Depth=1
                                        ;     Child Loop BB27_5 Depth 2
	s_max_u32 s9, s7, 1
.LBB27_5:                               ;   Parent Loop BB27_4 Depth=1
                                        ; =>  This Inner Loop Header: Depth=2
	s_delay_alu instid0(SALU_CYCLE_1)
	s_add_i32 s9, s9, -1
	s_sleep 1
	s_cmp_eq_u32 s9, 0
	s_cbranch_scc0 .LBB27_5
; %bb.6:                                ;   in Loop: Header=BB27_4 Depth=1
	;;#ASMSTART
	global_load_dwordx4 v[2:5], v[7:8] off glc	
s_waitcnt vmcnt(0)
	;;#ASMEND
	v_and_b32_e32 v5, 0xff, v4
	s_cmp_lt_u32 s7, 32
	s_cselect_b32 s9, -1, 0
	s_delay_alu instid0(SALU_CYCLE_1) | instskip(NEXT) | instid1(VALU_DEP_1)
	s_cmp_lg_u32 s9, 0
	v_cmp_ne_u64_e32 vcc_lo, 0, v[5:6]
	s_addc_u32 s7, s7, 0
	s_or_b32 s6, vcc_lo, s6
	s_delay_alu instid0(SALU_CYCLE_1)
	s_and_not1_b32 exec_lo, exec_lo, s6
	s_cbranch_execnz .LBB27_4
; %bb.7:
	s_or_b32 exec_lo, exec_lo, s6
.LBB27_8:
	s_delay_alu instid0(SALU_CYCLE_1)
	s_or_b32 exec_lo, exec_lo, s3
	v_mov_b32_e32 v0, 0
	global_store_b64 v0, v[2:3], s[4:5]
.LBB27_9:
	s_or_b32 exec_lo, exec_lo, s8
.LBB27_10:
	s_delay_alu instid0(VALU_DEP_1)
	v_cmp_gt_u32_e32 vcc_lo, s2, v1
	s_and_saveexec_b32 s2, vcc_lo
	s_cbranch_execz .LBB27_12
; %bb.11:
	v_dual_mov_b32 v3, 0 :: v_dual_add_nc_u32 v2, 32, v1
	s_delay_alu instid0(VALU_DEP_1) | instskip(SKIP_2) | instid1(VALU_DEP_3)
	v_lshlrev_b64 v[5:6], 4, v[2:3]
	v_mov_b32_e32 v2, v3
	v_mov_b32_e32 v4, v3
	v_add_co_u32 v7, vcc_lo, s0, v5
	s_delay_alu instid0(VALU_DEP_4)
	v_add_co_ci_u32_e32 v8, vcc_lo, s1, v6, vcc_lo
	v_mov_b32_e32 v5, v3
	global_store_b128 v[7:8], v[2:5], off
.LBB27_12:
	s_or_b32 exec_lo, exec_lo, s2
	s_delay_alu instid0(SALU_CYCLE_1)
	s_mov_b32 s2, exec_lo
	v_cmpx_gt_u32_e32 32, v1
	s_cbranch_execz .LBB27_14
; %bb.13:
	v_dual_mov_b32 v2, 0 :: v_dual_mov_b32 v3, 0xff
	s_delay_alu instid0(VALU_DEP_1) | instskip(SKIP_1) | instid1(VALU_DEP_2)
	v_lshlrev_b64 v[4:5], 4, v[1:2]
	v_mov_b32_e32 v1, v2
	v_add_co_u32 v6, vcc_lo, s0, v4
	s_delay_alu instid0(VALU_DEP_3)
	v_add_co_ci_u32_e32 v7, vcc_lo, s1, v5, vcc_lo
	v_mov_b32_e32 v4, v2
	global_store_b128 v[6:7], v[1:4], off
.LBB27_14:
	s_nop 0
	s_sendmsg sendmsg(MSG_DEALLOC_VGPRS)
	s_endpgm
	.section	.rodata,"a",@progbits
	.p2align	6, 0x0
	.amdhsa_kernel _ZN7rocprim17ROCPRIM_304000_NS6detail31init_lookback_scan_state_kernelINS1_19lookback_scan_stateIlLb1ELb1EEEEEvT_jjPNS5_10value_typeE
		.amdhsa_group_segment_fixed_size 0
		.amdhsa_private_segment_fixed_size 0
		.amdhsa_kernarg_size 280
		.amdhsa_user_sgpr_count 15
		.amdhsa_user_sgpr_dispatch_ptr 0
		.amdhsa_user_sgpr_queue_ptr 0
		.amdhsa_user_sgpr_kernarg_segment_ptr 1
		.amdhsa_user_sgpr_dispatch_id 0
		.amdhsa_user_sgpr_private_segment_size 0
		.amdhsa_wavefront_size32 1
		.amdhsa_uses_dynamic_stack 0
		.amdhsa_enable_private_segment 0
		.amdhsa_system_sgpr_workgroup_id_x 1
		.amdhsa_system_sgpr_workgroup_id_y 0
		.amdhsa_system_sgpr_workgroup_id_z 0
		.amdhsa_system_sgpr_workgroup_info 0
		.amdhsa_system_vgpr_workitem_id 0
		.amdhsa_next_free_vgpr 9
		.amdhsa_next_free_sgpr 16
		.amdhsa_reserve_vcc 1
		.amdhsa_float_round_mode_32 0
		.amdhsa_float_round_mode_16_64 0
		.amdhsa_float_denorm_mode_32 3
		.amdhsa_float_denorm_mode_16_64 3
		.amdhsa_dx10_clamp 1
		.amdhsa_ieee_mode 1
		.amdhsa_fp16_overflow 0
		.amdhsa_workgroup_processor_mode 1
		.amdhsa_memory_ordered 1
		.amdhsa_forward_progress 0
		.amdhsa_shared_vgpr_count 0
		.amdhsa_exception_fp_ieee_invalid_op 0
		.amdhsa_exception_fp_denorm_src 0
		.amdhsa_exception_fp_ieee_div_zero 0
		.amdhsa_exception_fp_ieee_overflow 0
		.amdhsa_exception_fp_ieee_underflow 0
		.amdhsa_exception_fp_ieee_inexact 0
		.amdhsa_exception_int_div_zero 0
	.end_amdhsa_kernel
	.section	.text._ZN7rocprim17ROCPRIM_304000_NS6detail31init_lookback_scan_state_kernelINS1_19lookback_scan_stateIlLb1ELb1EEEEEvT_jjPNS5_10value_typeE,"axG",@progbits,_ZN7rocprim17ROCPRIM_304000_NS6detail31init_lookback_scan_state_kernelINS1_19lookback_scan_stateIlLb1ELb1EEEEEvT_jjPNS5_10value_typeE,comdat
.Lfunc_end27:
	.size	_ZN7rocprim17ROCPRIM_304000_NS6detail31init_lookback_scan_state_kernelINS1_19lookback_scan_stateIlLb1ELb1EEEEEvT_jjPNS5_10value_typeE, .Lfunc_end27-_ZN7rocprim17ROCPRIM_304000_NS6detail31init_lookback_scan_state_kernelINS1_19lookback_scan_stateIlLb1ELb1EEEEEvT_jjPNS5_10value_typeE
                                        ; -- End function
	.section	.AMDGPU.csdata,"",@progbits
; Kernel info:
; codeLenInByte = 496
; NumSgprs: 18
; NumVgprs: 9
; ScratchSize: 0
; MemoryBound: 0
; FloatMode: 240
; IeeeMode: 1
; LDSByteSize: 0 bytes/workgroup (compile time only)
; SGPRBlocks: 2
; VGPRBlocks: 1
; NumSGPRsForWavesPerEU: 18
; NumVGPRsForWavesPerEU: 9
; Occupancy: 16
; WaveLimiterHint : 0
; COMPUTE_PGM_RSRC2:SCRATCH_EN: 0
; COMPUTE_PGM_RSRC2:USER_SGPR: 15
; COMPUTE_PGM_RSRC2:TRAP_HANDLER: 0
; COMPUTE_PGM_RSRC2:TGID_X_EN: 1
; COMPUTE_PGM_RSRC2:TGID_Y_EN: 0
; COMPUTE_PGM_RSRC2:TGID_Z_EN: 0
; COMPUTE_PGM_RSRC2:TIDIG_COMP_CNT: 0
	.section	.text._ZN7rocprim17ROCPRIM_304000_NS6detail31init_lookback_scan_state_kernelINS1_19lookback_scan_stateIlLb0ELb1EEEEEvT_jjPNS5_10value_typeE,"axG",@progbits,_ZN7rocprim17ROCPRIM_304000_NS6detail31init_lookback_scan_state_kernelINS1_19lookback_scan_stateIlLb0ELb1EEEEEvT_jjPNS5_10value_typeE,comdat
	.protected	_ZN7rocprim17ROCPRIM_304000_NS6detail31init_lookback_scan_state_kernelINS1_19lookback_scan_stateIlLb0ELb1EEEEEvT_jjPNS5_10value_typeE ; -- Begin function _ZN7rocprim17ROCPRIM_304000_NS6detail31init_lookback_scan_state_kernelINS1_19lookback_scan_stateIlLb0ELb1EEEEEvT_jjPNS5_10value_typeE
	.globl	_ZN7rocprim17ROCPRIM_304000_NS6detail31init_lookback_scan_state_kernelINS1_19lookback_scan_stateIlLb0ELb1EEEEEvT_jjPNS5_10value_typeE
	.p2align	8
	.type	_ZN7rocprim17ROCPRIM_304000_NS6detail31init_lookback_scan_state_kernelINS1_19lookback_scan_stateIlLb0ELb1EEEEEvT_jjPNS5_10value_typeE,@function
_ZN7rocprim17ROCPRIM_304000_NS6detail31init_lookback_scan_state_kernelINS1_19lookback_scan_stateIlLb0ELb1EEEEEvT_jjPNS5_10value_typeE: ; @_ZN7rocprim17ROCPRIM_304000_NS6detail31init_lookback_scan_state_kernelINS1_19lookback_scan_stateIlLb0ELb1EEEEEvT_jjPNS5_10value_typeE
; %bb.0:
	s_clause 0x2
	s_load_b32 s6, s[0:1], 0x24
	s_load_b64 s[4:5], s[0:1], 0x10
	s_load_b128 s[0:3], s[0:1], 0x0
	s_waitcnt lgkmcnt(0)
	s_and_b32 s6, s6, 0xffff
	s_cmp_eq_u64 s[4:5], 0
	v_mad_u64_u32 v[1:2], null, s15, s6, v[0:1]
	s_cbranch_scc1 .LBB28_8
; %bb.1:
	s_cmp_lt_u32 s3, s2
	s_mov_b32 s7, 0
	s_cselect_b32 s6, s3, 0
	s_mov_b32 s8, exec_lo
	s_delay_alu instid0(VALU_DEP_1)
	v_cmpx_eq_u32_e64 s6, v1
	s_cbranch_execz .LBB28_7
; %bb.2:
	s_add_i32 s6, s3, 32
	s_mov_b32 s3, exec_lo
	s_lshl_b64 s[6:7], s[6:7], 4
	v_mov_b32_e32 v6, 0
	s_add_u32 s6, s0, s6
	s_addc_u32 s7, s1, s7
	s_delay_alu instid0(SALU_CYCLE_1) | instskip(SKIP_2) | instid1(VALU_DEP_1)
	v_dual_mov_b32 v2, s6 :: v_dual_mov_b32 v3, s7
	;;#ASMSTART
	global_load_dwordx4 v[2:5], v[2:3] off glc	
s_waitcnt vmcnt(0)
	;;#ASMEND
	v_and_b32_e32 v5, 0xff, v4
	v_cmpx_eq_u64_e32 0, v[5:6]
	s_cbranch_execz .LBB28_6
; %bb.3:
	v_dual_mov_b32 v8, s7 :: v_dual_mov_b32 v7, s6
	s_mov_b32 s6, 0
.LBB28_4:                               ; =>This Inner Loop Header: Depth=1
	;;#ASMSTART
	global_load_dwordx4 v[2:5], v[7:8] off glc	
s_waitcnt vmcnt(0)
	;;#ASMEND
	v_and_b32_e32 v5, 0xff, v4
	s_delay_alu instid0(VALU_DEP_1) | instskip(SKIP_1) | instid1(SALU_CYCLE_1)
	v_cmp_ne_u64_e32 vcc_lo, 0, v[5:6]
	s_or_b32 s6, vcc_lo, s6
	s_and_not1_b32 exec_lo, exec_lo, s6
	s_cbranch_execnz .LBB28_4
; %bb.5:
	s_or_b32 exec_lo, exec_lo, s6
.LBB28_6:
	s_delay_alu instid0(SALU_CYCLE_1)
	s_or_b32 exec_lo, exec_lo, s3
	v_mov_b32_e32 v0, 0
	global_store_b64 v0, v[2:3], s[4:5]
.LBB28_7:
	s_or_b32 exec_lo, exec_lo, s8
.LBB28_8:
	s_delay_alu instid0(VALU_DEP_1)
	v_cmp_gt_u32_e32 vcc_lo, s2, v1
	s_and_saveexec_b32 s2, vcc_lo
	s_cbranch_execz .LBB28_10
; %bb.9:
	v_dual_mov_b32 v3, 0 :: v_dual_add_nc_u32 v2, 32, v1
	s_delay_alu instid0(VALU_DEP_1) | instskip(SKIP_2) | instid1(VALU_DEP_3)
	v_lshlrev_b64 v[5:6], 4, v[2:3]
	v_mov_b32_e32 v2, v3
	v_mov_b32_e32 v4, v3
	v_add_co_u32 v7, vcc_lo, s0, v5
	s_delay_alu instid0(VALU_DEP_4)
	v_add_co_ci_u32_e32 v8, vcc_lo, s1, v6, vcc_lo
	v_mov_b32_e32 v5, v3
	global_store_b128 v[7:8], v[2:5], off
.LBB28_10:
	s_or_b32 exec_lo, exec_lo, s2
	s_delay_alu instid0(SALU_CYCLE_1)
	s_mov_b32 s2, exec_lo
	v_cmpx_gt_u32_e32 32, v1
	s_cbranch_execz .LBB28_12
; %bb.11:
	v_dual_mov_b32 v2, 0 :: v_dual_mov_b32 v3, 0xff
	s_delay_alu instid0(VALU_DEP_1) | instskip(SKIP_1) | instid1(VALU_DEP_2)
	v_lshlrev_b64 v[4:5], 4, v[1:2]
	v_mov_b32_e32 v1, v2
	v_add_co_u32 v6, vcc_lo, s0, v4
	s_delay_alu instid0(VALU_DEP_3)
	v_add_co_ci_u32_e32 v7, vcc_lo, s1, v5, vcc_lo
	v_mov_b32_e32 v4, v2
	global_store_b128 v[6:7], v[1:4], off
.LBB28_12:
	s_nop 0
	s_sendmsg sendmsg(MSG_DEALLOC_VGPRS)
	s_endpgm
	.section	.rodata,"a",@progbits
	.p2align	6, 0x0
	.amdhsa_kernel _ZN7rocprim17ROCPRIM_304000_NS6detail31init_lookback_scan_state_kernelINS1_19lookback_scan_stateIlLb0ELb1EEEEEvT_jjPNS5_10value_typeE
		.amdhsa_group_segment_fixed_size 0
		.amdhsa_private_segment_fixed_size 0
		.amdhsa_kernarg_size 280
		.amdhsa_user_sgpr_count 15
		.amdhsa_user_sgpr_dispatch_ptr 0
		.amdhsa_user_sgpr_queue_ptr 0
		.amdhsa_user_sgpr_kernarg_segment_ptr 1
		.amdhsa_user_sgpr_dispatch_id 0
		.amdhsa_user_sgpr_private_segment_size 0
		.amdhsa_wavefront_size32 1
		.amdhsa_uses_dynamic_stack 0
		.amdhsa_enable_private_segment 0
		.amdhsa_system_sgpr_workgroup_id_x 1
		.amdhsa_system_sgpr_workgroup_id_y 0
		.amdhsa_system_sgpr_workgroup_id_z 0
		.amdhsa_system_sgpr_workgroup_info 0
		.amdhsa_system_vgpr_workitem_id 0
		.amdhsa_next_free_vgpr 9
		.amdhsa_next_free_sgpr 16
		.amdhsa_reserve_vcc 1
		.amdhsa_float_round_mode_32 0
		.amdhsa_float_round_mode_16_64 0
		.amdhsa_float_denorm_mode_32 3
		.amdhsa_float_denorm_mode_16_64 3
		.amdhsa_dx10_clamp 1
		.amdhsa_ieee_mode 1
		.amdhsa_fp16_overflow 0
		.amdhsa_workgroup_processor_mode 1
		.amdhsa_memory_ordered 1
		.amdhsa_forward_progress 0
		.amdhsa_shared_vgpr_count 0
		.amdhsa_exception_fp_ieee_invalid_op 0
		.amdhsa_exception_fp_denorm_src 0
		.amdhsa_exception_fp_ieee_div_zero 0
		.amdhsa_exception_fp_ieee_overflow 0
		.amdhsa_exception_fp_ieee_underflow 0
		.amdhsa_exception_fp_ieee_inexact 0
		.amdhsa_exception_int_div_zero 0
	.end_amdhsa_kernel
	.section	.text._ZN7rocprim17ROCPRIM_304000_NS6detail31init_lookback_scan_state_kernelINS1_19lookback_scan_stateIlLb0ELb1EEEEEvT_jjPNS5_10value_typeE,"axG",@progbits,_ZN7rocprim17ROCPRIM_304000_NS6detail31init_lookback_scan_state_kernelINS1_19lookback_scan_stateIlLb0ELb1EEEEEvT_jjPNS5_10value_typeE,comdat
.Lfunc_end28:
	.size	_ZN7rocprim17ROCPRIM_304000_NS6detail31init_lookback_scan_state_kernelINS1_19lookback_scan_stateIlLb0ELb1EEEEEvT_jjPNS5_10value_typeE, .Lfunc_end28-_ZN7rocprim17ROCPRIM_304000_NS6detail31init_lookback_scan_state_kernelINS1_19lookback_scan_stateIlLb0ELb1EEEEEvT_jjPNS5_10value_typeE
                                        ; -- End function
	.section	.AMDGPU.csdata,"",@progbits
; Kernel info:
; codeLenInByte = 448
; NumSgprs: 18
; NumVgprs: 9
; ScratchSize: 0
; MemoryBound: 0
; FloatMode: 240
; IeeeMode: 1
; LDSByteSize: 0 bytes/workgroup (compile time only)
; SGPRBlocks: 2
; VGPRBlocks: 1
; NumSGPRsForWavesPerEU: 18
; NumVGPRsForWavesPerEU: 9
; Occupancy: 16
; WaveLimiterHint : 0
; COMPUTE_PGM_RSRC2:SCRATCH_EN: 0
; COMPUTE_PGM_RSRC2:USER_SGPR: 15
; COMPUTE_PGM_RSRC2:TRAP_HANDLER: 0
; COMPUTE_PGM_RSRC2:TGID_X_EN: 1
; COMPUTE_PGM_RSRC2:TGID_Y_EN: 0
; COMPUTE_PGM_RSRC2:TGID_Z_EN: 0
; COMPUTE_PGM_RSRC2:TIDIG_COMP_CNT: 0
	.section	.text._ZN7rocprim17ROCPRIM_304000_NS6detail20lookback_scan_kernelILNS1_25lookback_scan_determinismE0ELb0ENS1_19wrapped_scan_configINS0_14default_configElEEPKlPlSt10multipliesIlEllNS1_19lookback_scan_stateIlLb1ELb1EEEEEvT2_T3_mT5_T4_T7_jPT6_SK_bb,"axG",@progbits,_ZN7rocprim17ROCPRIM_304000_NS6detail20lookback_scan_kernelILNS1_25lookback_scan_determinismE0ELb0ENS1_19wrapped_scan_configINS0_14default_configElEEPKlPlSt10multipliesIlEllNS1_19lookback_scan_stateIlLb1ELb1EEEEEvT2_T3_mT5_T4_T7_jPT6_SK_bb,comdat
	.protected	_ZN7rocprim17ROCPRIM_304000_NS6detail20lookback_scan_kernelILNS1_25lookback_scan_determinismE0ELb0ENS1_19wrapped_scan_configINS0_14default_configElEEPKlPlSt10multipliesIlEllNS1_19lookback_scan_stateIlLb1ELb1EEEEEvT2_T3_mT5_T4_T7_jPT6_SK_bb ; -- Begin function _ZN7rocprim17ROCPRIM_304000_NS6detail20lookback_scan_kernelILNS1_25lookback_scan_determinismE0ELb0ENS1_19wrapped_scan_configINS0_14default_configElEEPKlPlSt10multipliesIlEllNS1_19lookback_scan_stateIlLb1ELb1EEEEEvT2_T3_mT5_T4_T7_jPT6_SK_bb
	.globl	_ZN7rocprim17ROCPRIM_304000_NS6detail20lookback_scan_kernelILNS1_25lookback_scan_determinismE0ELb0ENS1_19wrapped_scan_configINS0_14default_configElEEPKlPlSt10multipliesIlEllNS1_19lookback_scan_stateIlLb1ELb1EEEEEvT2_T3_mT5_T4_T7_jPT6_SK_bb
	.p2align	8
	.type	_ZN7rocprim17ROCPRIM_304000_NS6detail20lookback_scan_kernelILNS1_25lookback_scan_determinismE0ELb0ENS1_19wrapped_scan_configINS0_14default_configElEEPKlPlSt10multipliesIlEllNS1_19lookback_scan_stateIlLb1ELb1EEEEEvT2_T3_mT5_T4_T7_jPT6_SK_bb,@function
_ZN7rocprim17ROCPRIM_304000_NS6detail20lookback_scan_kernelILNS1_25lookback_scan_determinismE0ELb0ENS1_19wrapped_scan_configINS0_14default_configElEEPKlPlSt10multipliesIlEllNS1_19lookback_scan_stateIlLb1ELb1EEEEEvT2_T3_mT5_T4_T7_jPT6_SK_bb: ; @_ZN7rocprim17ROCPRIM_304000_NS6detail20lookback_scan_kernelILNS1_25lookback_scan_determinismE0ELb0ENS1_19wrapped_scan_configINS0_14default_configElEEPKlPlSt10multipliesIlEllNS1_19lookback_scan_stateIlLb1ELb1EEEEEvT2_T3_mT5_T4_T7_jPT6_SK_bb
; %bb.0:
	s_endpgm
	.section	.rodata,"a",@progbits
	.p2align	6, 0x0
	.amdhsa_kernel _ZN7rocprim17ROCPRIM_304000_NS6detail20lookback_scan_kernelILNS1_25lookback_scan_determinismE0ELb0ENS1_19wrapped_scan_configINS0_14default_configElEEPKlPlSt10multipliesIlEllNS1_19lookback_scan_stateIlLb1ELb1EEEEEvT2_T3_mT5_T4_T7_jPT6_SK_bb
		.amdhsa_group_segment_fixed_size 0
		.amdhsa_private_segment_fixed_size 0
		.amdhsa_kernarg_size 76
		.amdhsa_user_sgpr_count 15
		.amdhsa_user_sgpr_dispatch_ptr 0
		.amdhsa_user_sgpr_queue_ptr 0
		.amdhsa_user_sgpr_kernarg_segment_ptr 1
		.amdhsa_user_sgpr_dispatch_id 0
		.amdhsa_user_sgpr_private_segment_size 0
		.amdhsa_wavefront_size32 1
		.amdhsa_uses_dynamic_stack 0
		.amdhsa_enable_private_segment 0
		.amdhsa_system_sgpr_workgroup_id_x 1
		.amdhsa_system_sgpr_workgroup_id_y 0
		.amdhsa_system_sgpr_workgroup_id_z 0
		.amdhsa_system_sgpr_workgroup_info 0
		.amdhsa_system_vgpr_workitem_id 0
		.amdhsa_next_free_vgpr 1
		.amdhsa_next_free_sgpr 1
		.amdhsa_reserve_vcc 0
		.amdhsa_float_round_mode_32 0
		.amdhsa_float_round_mode_16_64 0
		.amdhsa_float_denorm_mode_32 3
		.amdhsa_float_denorm_mode_16_64 3
		.amdhsa_dx10_clamp 1
		.amdhsa_ieee_mode 1
		.amdhsa_fp16_overflow 0
		.amdhsa_workgroup_processor_mode 1
		.amdhsa_memory_ordered 1
		.amdhsa_forward_progress 0
		.amdhsa_shared_vgpr_count 0
		.amdhsa_exception_fp_ieee_invalid_op 0
		.amdhsa_exception_fp_denorm_src 0
		.amdhsa_exception_fp_ieee_div_zero 0
		.amdhsa_exception_fp_ieee_overflow 0
		.amdhsa_exception_fp_ieee_underflow 0
		.amdhsa_exception_fp_ieee_inexact 0
		.amdhsa_exception_int_div_zero 0
	.end_amdhsa_kernel
	.section	.text._ZN7rocprim17ROCPRIM_304000_NS6detail20lookback_scan_kernelILNS1_25lookback_scan_determinismE0ELb0ENS1_19wrapped_scan_configINS0_14default_configElEEPKlPlSt10multipliesIlEllNS1_19lookback_scan_stateIlLb1ELb1EEEEEvT2_T3_mT5_T4_T7_jPT6_SK_bb,"axG",@progbits,_ZN7rocprim17ROCPRIM_304000_NS6detail20lookback_scan_kernelILNS1_25lookback_scan_determinismE0ELb0ENS1_19wrapped_scan_configINS0_14default_configElEEPKlPlSt10multipliesIlEllNS1_19lookback_scan_stateIlLb1ELb1EEEEEvT2_T3_mT5_T4_T7_jPT6_SK_bb,comdat
.Lfunc_end29:
	.size	_ZN7rocprim17ROCPRIM_304000_NS6detail20lookback_scan_kernelILNS1_25lookback_scan_determinismE0ELb0ENS1_19wrapped_scan_configINS0_14default_configElEEPKlPlSt10multipliesIlEllNS1_19lookback_scan_stateIlLb1ELb1EEEEEvT2_T3_mT5_T4_T7_jPT6_SK_bb, .Lfunc_end29-_ZN7rocprim17ROCPRIM_304000_NS6detail20lookback_scan_kernelILNS1_25lookback_scan_determinismE0ELb0ENS1_19wrapped_scan_configINS0_14default_configElEEPKlPlSt10multipliesIlEllNS1_19lookback_scan_stateIlLb1ELb1EEEEEvT2_T3_mT5_T4_T7_jPT6_SK_bb
                                        ; -- End function
	.section	.AMDGPU.csdata,"",@progbits
; Kernel info:
; codeLenInByte = 4
; NumSgprs: 0
; NumVgprs: 0
; ScratchSize: 0
; MemoryBound: 0
; FloatMode: 240
; IeeeMode: 1
; LDSByteSize: 0 bytes/workgroup (compile time only)
; SGPRBlocks: 0
; VGPRBlocks: 0
; NumSGPRsForWavesPerEU: 1
; NumVGPRsForWavesPerEU: 1
; Occupancy: 16
; WaveLimiterHint : 0
; COMPUTE_PGM_RSRC2:SCRATCH_EN: 0
; COMPUTE_PGM_RSRC2:USER_SGPR: 15
; COMPUTE_PGM_RSRC2:TRAP_HANDLER: 0
; COMPUTE_PGM_RSRC2:TGID_X_EN: 1
; COMPUTE_PGM_RSRC2:TGID_Y_EN: 0
; COMPUTE_PGM_RSRC2:TGID_Z_EN: 0
; COMPUTE_PGM_RSRC2:TIDIG_COMP_CNT: 0
	.section	.text._ZN7rocprim17ROCPRIM_304000_NS6detail20lookback_scan_kernelILNS1_25lookback_scan_determinismE0ELb0ENS1_19wrapped_scan_configINS0_14default_configElEEPKlPlSt10multipliesIlEllNS1_19lookback_scan_stateIlLb0ELb1EEEEEvT2_T3_mT5_T4_T7_jPT6_SK_bb,"axG",@progbits,_ZN7rocprim17ROCPRIM_304000_NS6detail20lookback_scan_kernelILNS1_25lookback_scan_determinismE0ELb0ENS1_19wrapped_scan_configINS0_14default_configElEEPKlPlSt10multipliesIlEllNS1_19lookback_scan_stateIlLb0ELb1EEEEEvT2_T3_mT5_T4_T7_jPT6_SK_bb,comdat
	.protected	_ZN7rocprim17ROCPRIM_304000_NS6detail20lookback_scan_kernelILNS1_25lookback_scan_determinismE0ELb0ENS1_19wrapped_scan_configINS0_14default_configElEEPKlPlSt10multipliesIlEllNS1_19lookback_scan_stateIlLb0ELb1EEEEEvT2_T3_mT5_T4_T7_jPT6_SK_bb ; -- Begin function _ZN7rocprim17ROCPRIM_304000_NS6detail20lookback_scan_kernelILNS1_25lookback_scan_determinismE0ELb0ENS1_19wrapped_scan_configINS0_14default_configElEEPKlPlSt10multipliesIlEllNS1_19lookback_scan_stateIlLb0ELb1EEEEEvT2_T3_mT5_T4_T7_jPT6_SK_bb
	.globl	_ZN7rocprim17ROCPRIM_304000_NS6detail20lookback_scan_kernelILNS1_25lookback_scan_determinismE0ELb0ENS1_19wrapped_scan_configINS0_14default_configElEEPKlPlSt10multipliesIlEllNS1_19lookback_scan_stateIlLb0ELb1EEEEEvT2_T3_mT5_T4_T7_jPT6_SK_bb
	.p2align	8
	.type	_ZN7rocprim17ROCPRIM_304000_NS6detail20lookback_scan_kernelILNS1_25lookback_scan_determinismE0ELb0ENS1_19wrapped_scan_configINS0_14default_configElEEPKlPlSt10multipliesIlEllNS1_19lookback_scan_stateIlLb0ELb1EEEEEvT2_T3_mT5_T4_T7_jPT6_SK_bb,@function
_ZN7rocprim17ROCPRIM_304000_NS6detail20lookback_scan_kernelILNS1_25lookback_scan_determinismE0ELb0ENS1_19wrapped_scan_configINS0_14default_configElEEPKlPlSt10multipliesIlEllNS1_19lookback_scan_stateIlLb0ELb1EEEEEvT2_T3_mT5_T4_T7_jPT6_SK_bb: ; @_ZN7rocprim17ROCPRIM_304000_NS6detail20lookback_scan_kernelILNS1_25lookback_scan_determinismE0ELb0ENS1_19wrapped_scan_configINS0_14default_configElEEPKlPlSt10multipliesIlEllNS1_19lookback_scan_stateIlLb0ELb1EEEEEvT2_T3_mT5_T4_T7_jPT6_SK_bb
; %bb.0:
	s_clause 0x2
	s_load_b32 s10, s[0:1], 0x30
	s_load_b64 s[2:3], s[0:1], 0x10
	s_load_b128 s[4:7], s[0:1], 0x0
	s_lshl_b32 s8, s15, 12
	s_mov_b32 s9, 0
	v_lshlrev_b32_e32 v80, 3, v0
	v_lshrrev_b32_e32 v37, 2, v0
	v_or_b32_e32 v79, 0x100, v0
	v_or_b32_e32 v78, 0x200, v0
	;; [unrolled: 1-line block ×13, first 2 shown]
	s_waitcnt lgkmcnt(0)
	s_add_i32 s10, s10, -1
	v_or_b32_e32 v66, 0xe00, v0
	s_lshl_b32 s11, s10, 12
	v_or_b32_e32 v65, 0xf00, v0
	s_sub_u32 s14, s2, s11
	s_subb_u32 s16, s3, 0
	s_cmp_lg_u32 s15, s10
	s_mov_b32 s3, -1
	s_cselect_b32 s17, -1, 0
	s_lshl_b64 s[12:13], s[8:9], 3
	s_delay_alu instid0(SALU_CYCLE_1)
	s_add_u32 s4, s4, s12
	s_addc_u32 s5, s5, s13
	s_and_b32 vcc_lo, exec_lo, s17
	s_cbranch_vccz .LBB30_2
; %bb.1:
	v_add_co_u32 v27, s2, s4, v80
	s_delay_alu instid0(VALU_DEP_1)
	v_add_co_ci_u32_e64 v28, null, s5, 0, s2
	s_clause 0x1
	global_load_b64 v[1:2], v80, s[4:5]
	global_load_b64 v[3:4], v80, s[4:5] offset:2048
	v_add_co_u32 v5, vcc_lo, 0x1000, v27
	v_add_co_ci_u32_e32 v6, vcc_lo, 0, v28, vcc_lo
	v_add_co_u32 v7, vcc_lo, v27, 0x2000
	v_add_co_ci_u32_e32 v8, vcc_lo, 0, v28, vcc_lo
	;; [unrolled: 2-line block ×10, first 2 shown]
	s_clause 0xd
	global_load_b64 v[17:18], v[7:8], off offset:-4096
	global_load_b64 v[7:8], v[7:8], off
	global_load_b64 v[19:20], v[13:14], off offset:-4096
	global_load_b64 v[13:14], v[13:14], off
	global_load_b64 v[5:6], v[5:6], off offset:2048
	global_load_b64 v[9:10], v[9:10], off offset:2048
	;; [unrolled: 1-line block ×4, first 2 shown]
	global_load_b64 v[29:30], v[23:24], off offset:-4096
	global_load_b64 v[21:22], v[21:22], off offset:2048
	global_load_b64 v[23:24], v[23:24], off
	global_load_b64 v[25:26], v[25:26], off offset:2048
	global_load_b64 v[31:32], v[27:28], off
	global_load_b64 v[27:28], v[27:28], off offset:2048
	v_lshrrev_b32_e32 v34, 2, v79
	v_lshrrev_b32_e32 v35, 2, v78
	;; [unrolled: 1-line block ×4, first 2 shown]
	v_and_b32_e32 v33, 56, v37
	v_lshrrev_b32_e32 v39, 2, v75
	v_lshrrev_b32_e32 v40, 2, v74
	;; [unrolled: 1-line block ×11, first 2 shown]
	v_and_b32_e32 v34, 0x78, v34
	v_and_b32_e32 v35, 0xb8, v35
	;; [unrolled: 1-line block ×4, first 2 shown]
	v_add_nc_u32_e32 v33, v33, v80
	v_and_b32_e32 v39, 0x178, v39
	v_and_b32_e32 v40, 0x1b8, v40
	;; [unrolled: 1-line block ×11, first 2 shown]
	v_add_nc_u32_e32 v34, v34, v80
	v_add_nc_u32_e32 v35, v35, v80
	;; [unrolled: 1-line block ×4, first 2 shown]
	s_mov_b32 s3, 0
	v_add_nc_u32_e32 v39, v39, v80
	v_add_nc_u32_e32 v40, v40, v80
	;; [unrolled: 1-line block ×11, first 2 shown]
	s_waitcnt vmcnt(15)
	ds_store_b64 v33, v[1:2]
	s_waitcnt vmcnt(14)
	ds_store_b64 v34, v[3:4] offset:2048
	s_waitcnt vmcnt(13)
	ds_store_b64 v35, v[17:18] offset:4096
	;; [unrolled: 2-line block ×3, first 2 shown]
	ds_store_b64 v38, v[7:8] offset:8192
	s_waitcnt vmcnt(8)
	ds_store_b64 v39, v[9:10] offset:10240
	ds_store_b64 v40, v[19:20] offset:12288
	s_waitcnt vmcnt(7)
	ds_store_b64 v41, v[11:12] offset:14336
	;; [unrolled: 3-line block ×3, first 2 shown]
	s_waitcnt vmcnt(5)
	ds_store_b64 v44, v[29:30] offset:20480
	s_waitcnt vmcnt(4)
	ds_store_b64 v45, v[21:22] offset:22528
	;; [unrolled: 2-line block ×6, first 2 shown]
	s_waitcnt lgkmcnt(0)
	s_barrier
.LBB30_2:
	v_cmp_gt_u32_e64 s2, s14, v0
	s_and_not1_b32 vcc_lo, exec_lo, s3
	s_cbranch_vccnz .LBB30_21
; %bb.3:
	s_load_b64 s[36:37], s[4:5], 0x0
	v_add_co_u32 v35, s3, s4, v80
	s_delay_alu instid0(VALU_DEP_1)
	v_add_co_ci_u32_e64 v36, null, s5, 0, s3
	s_waitcnt lgkmcnt(0)
	s_mov_b32 s38, s36
	s_mov_b32 s39, s37
	;; [unrolled: 1-line block ×30, first 2 shown]
	v_dual_mov_b32 v1, s36 :: v_dual_mov_b32 v2, s37
	v_dual_mov_b32 v3, s38 :: v_dual_mov_b32 v4, s39
	;; [unrolled: 1-line block ×17, first 2 shown]
	s_and_saveexec_b32 s3, s2
	s_cbranch_execnz .LBB30_172
; %bb.4:
	s_or_b32 exec_lo, exec_lo, s3
	s_delay_alu instid0(SALU_CYCLE_1)
	s_mov_b32 s2, exec_lo
	v_cmpx_gt_u32_e64 s14, v79
	s_cbranch_execnz .LBB30_173
.LBB30_5:
	s_or_b32 exec_lo, exec_lo, s2
	s_delay_alu instid0(SALU_CYCLE_1)
	s_mov_b32 s2, exec_lo
	v_cmpx_gt_u32_e64 s14, v78
	s_cbranch_execnz .LBB30_174
.LBB30_6:
	s_or_b32 exec_lo, exec_lo, s2
	s_delay_alu instid0(SALU_CYCLE_1)
	s_mov_b32 s2, exec_lo
	v_cmpx_gt_u32_e64 s14, v77
	s_cbranch_execnz .LBB30_175
.LBB30_7:
	s_or_b32 exec_lo, exec_lo, s2
	s_delay_alu instid0(SALU_CYCLE_1)
	s_mov_b32 s2, exec_lo
	v_cmpx_gt_u32_e64 s14, v76
	s_cbranch_execnz .LBB30_176
.LBB30_8:
	s_or_b32 exec_lo, exec_lo, s2
	s_delay_alu instid0(SALU_CYCLE_1)
	s_mov_b32 s2, exec_lo
	v_cmpx_gt_u32_e64 s14, v75
	s_cbranch_execnz .LBB30_177
.LBB30_9:
	s_or_b32 exec_lo, exec_lo, s2
	s_delay_alu instid0(SALU_CYCLE_1)
	s_mov_b32 s2, exec_lo
	v_cmpx_gt_u32_e64 s14, v74
	s_cbranch_execnz .LBB30_178
.LBB30_10:
	s_or_b32 exec_lo, exec_lo, s2
	s_delay_alu instid0(SALU_CYCLE_1)
	s_mov_b32 s2, exec_lo
	v_cmpx_gt_u32_e64 s14, v73
	s_cbranch_execnz .LBB30_179
.LBB30_11:
	s_or_b32 exec_lo, exec_lo, s2
	s_delay_alu instid0(SALU_CYCLE_1)
	s_mov_b32 s2, exec_lo
	v_cmpx_gt_u32_e64 s14, v72
	s_cbranch_execnz .LBB30_180
.LBB30_12:
	s_or_b32 exec_lo, exec_lo, s2
	s_delay_alu instid0(SALU_CYCLE_1)
	s_mov_b32 s2, exec_lo
	v_cmpx_gt_u32_e64 s14, v71
	s_cbranch_execnz .LBB30_181
.LBB30_13:
	s_or_b32 exec_lo, exec_lo, s2
	s_delay_alu instid0(SALU_CYCLE_1)
	s_mov_b32 s2, exec_lo
	v_cmpx_gt_u32_e64 s14, v70
	s_cbranch_execnz .LBB30_182
.LBB30_14:
	s_or_b32 exec_lo, exec_lo, s2
	s_delay_alu instid0(SALU_CYCLE_1)
	s_mov_b32 s2, exec_lo
	v_cmpx_gt_u32_e64 s14, v69
	s_cbranch_execnz .LBB30_183
.LBB30_15:
	s_or_b32 exec_lo, exec_lo, s2
	s_delay_alu instid0(SALU_CYCLE_1)
	s_mov_b32 s2, exec_lo
	v_cmpx_gt_u32_e64 s14, v68
	s_cbranch_execnz .LBB30_184
.LBB30_16:
	s_or_b32 exec_lo, exec_lo, s2
	s_delay_alu instid0(SALU_CYCLE_1)
	s_mov_b32 s2, exec_lo
	v_cmpx_gt_u32_e64 s14, v67
	s_cbranch_execnz .LBB30_185
.LBB30_17:
	s_or_b32 exec_lo, exec_lo, s2
	s_delay_alu instid0(SALU_CYCLE_1)
	s_mov_b32 s2, exec_lo
	v_cmpx_gt_u32_e64 s14, v66
	s_cbranch_execnz .LBB30_186
.LBB30_18:
	s_or_b32 exec_lo, exec_lo, s2
	s_delay_alu instid0(SALU_CYCLE_1)
	s_mov_b32 s2, exec_lo
	v_cmpx_gt_u32_e64 s14, v65
	s_cbranch_execz .LBB30_20
.LBB30_19:
	v_add_co_u32 v1, vcc_lo, 0x7000, v35
	v_add_co_ci_u32_e32 v2, vcc_lo, 0, v36, vcc_lo
	global_load_b64 v[31:32], v[1:2], off offset:2048
.LBB30_20:
	s_or_b32 exec_lo, exec_lo, s2
	v_lshrrev_b32_e32 v1, 2, v79
	v_lshrrev_b32_e32 v2, 2, v78
	;; [unrolled: 1-line block ×3, first 2 shown]
	v_and_b32_e32 v36, 56, v37
	v_lshrrev_b32_e32 v37, 2, v76
	v_and_b32_e32 v1, 0x78, v1
	v_and_b32_e32 v2, 0xf8, v2
	;; [unrolled: 1-line block ×3, first 2 shown]
	v_lshrrev_b32_e32 v38, 2, v75
	v_add_nc_u32_e32 v36, v36, v80
	v_add_nc_u32_e32 v1, v1, v80
	v_lshrrev_b32_e32 v39, 2, v74
	v_add_nc_u32_e32 v2, v2, v80
	v_lshrrev_b32_e32 v40, 2, v73
	v_add_nc_u32_e32 v35, v35, v80
	v_and_b32_e32 v37, 0x1f8, v37
	v_and_b32_e32 v38, 0x1f8, v38
	s_waitcnt vmcnt(0)
	ds_store_b64 v36, v[33:34]
	ds_store_b64 v1, v[3:4] offset:2048
	ds_store_b64 v2, v[5:6] offset:4096
	;; [unrolled: 1-line block ×3, first 2 shown]
	v_lshrrev_b32_e32 v5, 2, v72
	v_and_b32_e32 v3, 0x1f8, v39
	v_lshrrev_b32_e32 v6, 2, v71
	v_lshrrev_b32_e32 v7, 2, v70
	v_and_b32_e32 v4, 0x1f8, v40
	v_add_nc_u32_e32 v1, v37, v80
	v_add_nc_u32_e32 v2, v38, v80
	v_and_b32_e32 v5, 0x3f8, v5
	v_add_nc_u32_e32 v3, v3, v80
	v_and_b32_e32 v6, 0x3f8, v6
	v_and_b32_e32 v7, 0x3f8, v7
	v_add_nc_u32_e32 v4, v4, v80
	ds_store_b64 v1, v[9:10] offset:8192
	ds_store_b64 v2, v[11:12] offset:10240
	;; [unrolled: 1-line block ×4, first 2 shown]
	v_lshrrev_b32_e32 v4, 2, v69
	v_add_nc_u32_e32 v1, v5, v80
	v_lshrrev_b32_e32 v5, 2, v68
	v_add_nc_u32_e32 v2, v6, v80
	v_add_nc_u32_e32 v3, v7, v80
	v_lshrrev_b32_e32 v6, 2, v67
	v_lshrrev_b32_e32 v7, 2, v66
	;; [unrolled: 1-line block ×3, first 2 shown]
	v_and_b32_e32 v4, 0x3f8, v4
	v_and_b32_e32 v5, 0x3f8, v5
	;; [unrolled: 1-line block ×5, first 2 shown]
	v_add_nc_u32_e32 v4, v4, v80
	v_add_nc_u32_e32 v5, v5, v80
	;; [unrolled: 1-line block ×5, first 2 shown]
	ds_store_b64 v1, v[17:18] offset:16384
	ds_store_b64 v2, v[19:20] offset:18432
	;; [unrolled: 1-line block ×8, first 2 shown]
	s_waitcnt lgkmcnt(0)
	s_barrier
.LBB30_21:
	v_lshlrev_b32_e32 v1, 4, v0
	v_lshrrev_b32_e32 v82, 1, v0
	buffer_gl0_inv
	s_load_b64 s[4:5], s[0:1], 0x28
	v_lshrrev_b32_e32 v81, 5, v0
	v_cmp_gt_u32_e32 vcc_lo, 32, v0
	v_add_lshl_u32 v1, v82, v1, 3
	s_cmp_lg_u32 s15, 0
	ds_load_2addr_b64 v[61:64], v1 offset1:1
	ds_load_2addr_b64 v[57:60], v1 offset0:2 offset1:3
	ds_load_2addr_b64 v[53:56], v1 offset0:4 offset1:5
	;; [unrolled: 1-line block ×7, first 2 shown]
	s_waitcnt lgkmcnt(0)
	s_barrier
	buffer_gl0_inv
	s_cbranch_scc0 .LBB30_76
; %bb.22:
	v_mul_lo_u32 v3, v64, v61
	v_mul_lo_u32 v4, v63, v62
	v_mad_u64_u32 v[1:2], null, v63, v61, 0
	s_delay_alu instid0(VALU_DEP_1) | instskip(NEXT) | instid1(VALU_DEP_2)
	v_add3_u32 v4, v2, v4, v3
	v_mul_lo_u32 v5, v1, v58
	v_mad_u64_u32 v[2:3], null, v1, v57, 0
	s_delay_alu instid0(VALU_DEP_3) | instskip(NEXT) | instid1(VALU_DEP_1)
	v_mul_lo_u32 v1, v4, v57
	v_add3_u32 v1, v3, v5, v1
	s_delay_alu instid0(VALU_DEP_3) | instskip(SKIP_1) | instid1(VALU_DEP_3)
	v_mul_lo_u32 v5, v2, v60
	v_mad_u64_u32 v[3:4], null, v2, v59, 0
	v_mul_lo_u32 v1, v1, v59
	s_delay_alu instid0(VALU_DEP_1) | instskip(NEXT) | instid1(VALU_DEP_3)
	v_add3_u32 v4, v4, v5, v1
	v_mul_lo_u32 v5, v3, v54
	v_mad_u64_u32 v[1:2], null, v3, v53, 0
	s_delay_alu instid0(VALU_DEP_3) | instskip(NEXT) | instid1(VALU_DEP_1)
	v_mul_lo_u32 v3, v4, v53
	v_add3_u32 v4, v2, v5, v3
	s_delay_alu instid0(VALU_DEP_3) | instskip(SKIP_1) | instid1(VALU_DEP_3)
	v_mul_lo_u32 v5, v1, v56
	v_mad_u64_u32 v[2:3], null, v1, v55, 0
	v_mul_lo_u32 v1, v4, v55
	s_delay_alu instid0(VALU_DEP_1) | instskip(NEXT) | instid1(VALU_DEP_3)
	;; [unrolled: 11-line block ×6, first 2 shown]
	v_add3_u32 v4, v2, v5, v3
	v_mul_lo_u32 v5, v1, v34
	v_mad_u64_u32 v[2:3], null, v1, v33, 0
	s_delay_alu instid0(VALU_DEP_3) | instskip(NEXT) | instid1(VALU_DEP_2)
	v_mul_lo_u32 v1, v4, v33
	v_mad_u64_u32 v[17:18], null, v2, v35, 0
	s_delay_alu instid0(VALU_DEP_2) | instskip(SKIP_2) | instid1(VALU_DEP_3)
	v_add3_u32 v1, v3, v5, v1
	v_mul_lo_u32 v3, v2, v36
	v_add_lshl_u32 v2, v81, v0, 3
	v_mul_lo_u32 v1, v1, v35
	s_delay_alu instid0(VALU_DEP_1)
	v_add3_u32 v18, v18, v3, v1
	ds_store_b64 v2, v[17:18]
	s_waitcnt lgkmcnt(0)
	s_barrier
	buffer_gl0_inv
	s_and_saveexec_b32 s3, vcc_lo
	s_cbranch_execz .LBB30_34
; %bb.23:
	v_lshlrev_b32_e32 v1, 1, v0
	s_mov_b32 s8, exec_lo
	s_delay_alu instid0(VALU_DEP_1) | instskip(NEXT) | instid1(VALU_DEP_1)
	v_and_b32_e32 v1, 0x1f8, v1
	v_lshl_or_b32 v23, v0, 6, v1
	ds_load_2addr_b64 v[13:16], v23 offset1:1
	ds_load_2addr_b64 v[9:12], v23 offset0:2 offset1:3
	ds_load_2addr_b64 v[5:8], v23 offset0:4 offset1:5
	s_waitcnt lgkmcnt(2)
	v_mul_lo_u32 v3, v16, v13
	v_mul_lo_u32 v4, v15, v14
	v_mad_u64_u32 v[1:2], null, v15, v13, 0
	s_delay_alu instid0(VALU_DEP_1) | instskip(SKIP_1) | instid1(VALU_DEP_2)
	v_add3_u32 v4, v2, v4, v3
	s_waitcnt lgkmcnt(1)
	v_mul_lo_u32 v19, v1, v10
	v_mad_u64_u32 v[2:3], null, v1, v9, 0
	s_delay_alu instid0(VALU_DEP_3) | instskip(NEXT) | instid1(VALU_DEP_1)
	v_mul_lo_u32 v1, v4, v9
	v_add3_u32 v1, v3, v19, v1
	s_delay_alu instid0(VALU_DEP_3) | instskip(SKIP_1) | instid1(VALU_DEP_3)
	v_mul_lo_u32 v3, v2, v12
	v_mad_u64_u32 v[19:20], null, v2, v11, 0
	v_mul_lo_u32 v1, v1, v11
	s_delay_alu instid0(VALU_DEP_1)
	v_add3_u32 v22, v20, v3, v1
	ds_load_2addr_b64 v[1:4], v23 offset0:6 offset1:7
	s_waitcnt lgkmcnt(1)
	v_mul_lo_u32 v24, v19, v6
	v_mad_u64_u32 v[20:21], null, v19, v5, 0
	v_mul_lo_u32 v19, v22, v5
	s_delay_alu instid0(VALU_DEP_1) | instskip(NEXT) | instid1(VALU_DEP_3)
	v_add3_u32 v19, v21, v24, v19
	v_mul_lo_u32 v24, v20, v8
	v_mad_u64_u32 v[21:22], null, v20, v7, 0
	s_delay_alu instid0(VALU_DEP_3) | instskip(SKIP_1) | instid1(VALU_DEP_2)
	v_mul_lo_u32 v19, v19, v7
	s_waitcnt lgkmcnt(0)
	v_mul_lo_u32 v20, v21, v2
	s_delay_alu instid0(VALU_DEP_2) | instskip(SKIP_1) | instid1(VALU_DEP_2)
	v_add3_u32 v19, v22, v24, v19
	v_mad_u64_u32 v[24:25], null, v21, v1, 0
	v_mul_lo_u32 v19, v19, v1
	s_delay_alu instid0(VALU_DEP_2) | instskip(NEXT) | instid1(VALU_DEP_2)
	v_mul_lo_u32 v22, v24, v4
	v_add3_u32 v21, v25, v20, v19
	v_mad_u64_u32 v[19:20], null, v24, v3, 0
	v_mbcnt_lo_u32_b32 v24, -1, 0
	s_delay_alu instid0(VALU_DEP_3) | instskip(NEXT) | instid1(VALU_DEP_2)
	v_mul_lo_u32 v21, v21, v3
	v_and_b32_e32 v25, 15, v24
	s_delay_alu instid0(VALU_DEP_4) | instskip(NEXT) | instid1(VALU_DEP_3)
	v_mov_b32_dpp v26, v19 row_shr:1 row_mask:0xf bank_mask:0xf
	v_add3_u32 v20, v20, v22, v21
	s_delay_alu instid0(VALU_DEP_1)
	v_mov_b32_e32 v22, v20
	v_mov_b32_dpp v27, v20 row_shr:1 row_mask:0xf bank_mask:0xf
	v_mov_b32_e32 v21, v19
	v_cmpx_ne_u32_e32 0, v25
; %bb.24:
	s_delay_alu instid0(VALU_DEP_3) | instskip(SKIP_2) | instid1(VALU_DEP_1)
	v_mul_lo_u32 v27, v27, v19
	v_mul_lo_u32 v20, v26, v20
	v_mad_u64_u32 v[21:22], null, v26, v19, 0
	v_add3_u32 v22, v22, v20, v27
	s_delay_alu instid0(VALU_DEP_1)
	v_dual_mov_b32 v19, v21 :: v_dual_mov_b32 v20, v22
; %bb.25:
	s_or_b32 exec_lo, exec_lo, s8
	s_delay_alu instid0(VALU_DEP_1) | instskip(NEXT) | instid1(VALU_DEP_2)
	v_mov_b32_dpp v26, v19 row_shr:2 row_mask:0xf bank_mask:0xf
	v_mov_b32_dpp v27, v20 row_shr:2 row_mask:0xf bank_mask:0xf
	s_mov_b32 s8, exec_lo
	v_cmpx_lt_u32_e32 1, v25
; %bb.26:
	s_delay_alu instid0(VALU_DEP_2) | instskip(SKIP_2) | instid1(VALU_DEP_1)
	v_mul_lo_u32 v27, v27, v21
	v_mul_lo_u32 v22, v26, v22
	v_mad_u64_u32 v[19:20], null, v26, v21, 0
	v_add3_u32 v20, v20, v22, v27
	s_delay_alu instid0(VALU_DEP_1)
	v_dual_mov_b32 v22, v20 :: v_dual_mov_b32 v21, v19
; %bb.27:
	s_or_b32 exec_lo, exec_lo, s8
	v_mov_b32_dpp v26, v19 row_shr:4 row_mask:0xf bank_mask:0xf
	v_mov_b32_dpp v27, v20 row_shr:4 row_mask:0xf bank_mask:0xf
	s_mov_b32 s8, exec_lo
	v_cmpx_lt_u32_e32 3, v25
; %bb.28:
	s_delay_alu instid0(VALU_DEP_2) | instskip(SKIP_2) | instid1(VALU_DEP_1)
	v_mul_lo_u32 v27, v27, v21
	v_mul_lo_u32 v22, v26, v22
	v_mad_u64_u32 v[19:20], null, v26, v21, 0
	v_add3_u32 v20, v20, v22, v27
	s_delay_alu instid0(VALU_DEP_1)
	v_dual_mov_b32 v22, v20 :: v_dual_mov_b32 v21, v19
; %bb.29:
	s_or_b32 exec_lo, exec_lo, s8
	v_mov_b32_dpp v26, v19 row_shr:8 row_mask:0xf bank_mask:0xf
	v_mov_b32_dpp v27, v20 row_shr:8 row_mask:0xf bank_mask:0xf
	s_mov_b32 s8, exec_lo
	v_cmpx_lt_u32_e32 7, v25
; %bb.30:
	s_delay_alu instid0(VALU_DEP_2) | instskip(SKIP_2) | instid1(VALU_DEP_1)
	v_mul_lo_u32 v25, v27, v21
	v_mul_lo_u32 v22, v26, v22
	v_mad_u64_u32 v[19:20], null, v26, v21, 0
	v_add3_u32 v20, v20, v22, v25
	s_delay_alu instid0(VALU_DEP_1)
	v_dual_mov_b32 v22, v20 :: v_dual_mov_b32 v21, v19
; %bb.31:
	s_or_b32 exec_lo, exec_lo, s8
	ds_swizzle_b32 v25, v19 offset:swizzle(BROADCAST,32,15)
	ds_swizzle_b32 v26, v20 offset:swizzle(BROADCAST,32,15)
	v_and_b32_e32 v27, 16, v24
	s_mov_b32 s8, exec_lo
	s_delay_alu instid0(VALU_DEP_1)
	v_cmpx_ne_u32_e32 0, v27
	s_cbranch_execz .LBB30_33
; %bb.32:
	s_waitcnt lgkmcnt(0)
	v_mul_lo_u32 v26, v26, v21
	v_mul_lo_u32 v22, v25, v22
	v_mad_u64_u32 v[19:20], null, v25, v21, 0
	s_delay_alu instid0(VALU_DEP_1)
	v_add3_u32 v20, v20, v22, v26
.LBB30_33:
	s_or_b32 exec_lo, exec_lo, s8
	v_add_nc_u32_e32 v21, -1, v24
	s_delay_alu instid0(VALU_DEP_1) | instskip(NEXT) | instid1(VALU_DEP_1)
	v_cmp_gt_i32_e64 s2, 0, v21
	v_cndmask_b32_e64 v21, v21, v24, s2
	v_cmp_eq_u32_e64 s2, 0, v0
	s_delay_alu instid0(VALU_DEP_2)
	v_lshlrev_b32_e32 v21, 2, v21
	ds_bpermute_b32 v20, v21, v20
	ds_bpermute_b32 v21, v21, v19
	s_waitcnt lgkmcnt(1)
	v_mul_lo_u32 v22, v20, v13
	s_waitcnt lgkmcnt(0)
	v_mul_lo_u32 v14, v21, v14
	v_mad_u64_u32 v[19:20], null, v21, v13, 0
	s_delay_alu instid0(VALU_DEP_1) | instskip(NEXT) | instid1(VALU_DEP_1)
	v_add3_u32 v13, v20, v14, v22
	v_cndmask_b32_e64 v14, v13, v18, s2
	s_delay_alu instid0(VALU_DEP_3) | instskip(NEXT) | instid1(VALU_DEP_2)
	v_cndmask_b32_e64 v13, v19, v17, s2
	v_mul_lo_u32 v18, v14, v15
	s_delay_alu instid0(VALU_DEP_2) | instskip(SKIP_1) | instid1(VALU_DEP_1)
	v_mul_lo_u32 v19, v13, v16
	v_mad_u64_u32 v[16:17], null, v13, v15, 0
	v_add3_u32 v17, v17, v19, v18
	s_delay_alu instid0(VALU_DEP_2) | instskip(SKIP_1) | instid1(VALU_DEP_3)
	v_mul_lo_u32 v10, v16, v10
	v_mad_u64_u32 v[18:19], null, v16, v9, 0
	v_mul_lo_u32 v9, v17, v9
	s_delay_alu instid0(VALU_DEP_2) | instskip(NEXT) | instid1(VALU_DEP_2)
	v_mul_lo_u32 v12, v18, v12
	v_add3_u32 v19, v19, v10, v9
	v_mad_u64_u32 v[9:10], null, v18, v11, 0
	s_delay_alu instid0(VALU_DEP_2) | instskip(NEXT) | instid1(VALU_DEP_2)
	v_mul_lo_u32 v11, v19, v11
	v_mul_lo_u32 v6, v9, v6
	s_delay_alu instid0(VALU_DEP_2) | instskip(SKIP_1) | instid1(VALU_DEP_2)
	v_add3_u32 v10, v10, v12, v11
	v_mad_u64_u32 v[11:12], null, v9, v5, 0
	v_mul_lo_u32 v5, v10, v5
	s_delay_alu instid0(VALU_DEP_2) | instskip(NEXT) | instid1(VALU_DEP_2)
	v_mul_lo_u32 v8, v11, v8
	v_add3_u32 v12, v12, v6, v5
	v_mad_u64_u32 v[5:6], null, v11, v7, 0
	s_delay_alu instid0(VALU_DEP_2) | instskip(NEXT) | instid1(VALU_DEP_2)
	v_mul_lo_u32 v7, v12, v7
	v_mul_lo_u32 v2, v5, v2
	s_delay_alu instid0(VALU_DEP_2) | instskip(SKIP_1) | instid1(VALU_DEP_2)
	v_add3_u32 v6, v6, v8, v7
	v_mad_u64_u32 v[7:8], null, v5, v1, 0
	v_mul_lo_u32 v1, v6, v1
	s_delay_alu instid0(VALU_DEP_2) | instskip(NEXT) | instid1(VALU_DEP_2)
	v_mul_lo_u32 v4, v7, v4
	v_add3_u32 v8, v8, v2, v1
	v_mad_u64_u32 v[1:2], null, v7, v3, 0
	s_delay_alu instid0(VALU_DEP_2) | instskip(NEXT) | instid1(VALU_DEP_1)
	v_mul_lo_u32 v15, v8, v3
	v_add3_u32 v2, v2, v4, v15
	ds_store_2addr_b64 v23, v[13:14], v[16:17] offset1:1
	ds_store_2addr_b64 v23, v[18:19], v[9:10] offset0:2 offset1:3
	ds_store_2addr_b64 v23, v[11:12], v[5:6] offset0:4 offset1:5
	;; [unrolled: 1-line block ×3, first 2 shown]
.LBB30_34:
	s_or_b32 exec_lo, exec_lo, s3
	v_mov_b32_e32 v7, 1
	v_cmp_eq_u32_e64 s2, 0, v0
	v_mov_b32_e32 v8, 0
	s_mov_b32 s8, exec_lo
	s_waitcnt lgkmcnt(0)
	s_barrier
	buffer_gl0_inv
	v_cmpx_ne_u32_e32 0, v0
	s_cbranch_execz .LBB30_36
; %bb.35:
	v_add_nc_u32_e32 v1, -1, v0
	s_delay_alu instid0(VALU_DEP_1) | instskip(NEXT) | instid1(VALU_DEP_1)
	v_lshrrev_b32_e32 v2, 5, v1
	v_add_lshl_u32 v1, v2, v1, 3
	ds_load_b64 v[7:8], v1
.LBB30_36:
	s_or_b32 exec_lo, exec_lo, s8
	s_and_saveexec_b32 s10, vcc_lo
	s_cbranch_execz .LBB30_75
; %bb.37:
	v_mov_b32_e32 v4, 0
	v_mbcnt_lo_u32_b32 v12, -1, 0
	ds_load_b64 v[1:2], v4 offset:2096
	v_cmp_eq_u32_e64 s3, 0, v12
	s_delay_alu instid0(VALU_DEP_1)
	s_and_saveexec_b32 s11, s3
	s_cbranch_execz .LBB30_39
; %bb.38:
	s_add_i32 s8, s15, 32
	s_delay_alu instid0(SALU_CYCLE_1) | instskip(NEXT) | instid1(SALU_CYCLE_1)
	s_lshl_b64 s[8:9], s[8:9], 4
	s_add_u32 s8, s4, s8
	s_addc_u32 s9, s5, s9
	v_mov_b32_e32 v5, s8
	v_dual_mov_b32 v3, 1 :: v_dual_mov_b32 v6, s9
	s_waitcnt lgkmcnt(0)
	;;#ASMSTART
	global_store_dwordx4 v[5:6], v[1:4] off	
s_waitcnt vmcnt(0)
	;;#ASMEND
.LBB30_39:
	s_or_b32 exec_lo, exec_lo, s11
	v_xad_u32 v9, v12, -1, s15
	s_mov_b32 s8, exec_lo
	s_delay_alu instid0(VALU_DEP_1) | instskip(NEXT) | instid1(VALU_DEP_1)
	v_add_nc_u32_e32 v3, 32, v9
	v_lshlrev_b64 v[3:4], 4, v[3:4]
	s_delay_alu instid0(VALU_DEP_1) | instskip(NEXT) | instid1(VALU_DEP_2)
	v_add_co_u32 v10, vcc_lo, s4, v3
	v_add_co_ci_u32_e32 v11, vcc_lo, s5, v4, vcc_lo
	;;#ASMSTART
	global_load_dwordx4 v[3:6], v[10:11] off glc	
s_waitcnt vmcnt(0)
	;;#ASMEND
	v_and_b32_e32 v6, 0xff, v5
	s_delay_alu instid0(VALU_DEP_1)
	v_cmpx_eq_u16_e32 0, v6
	s_cbranch_execz .LBB30_43
; %bb.40:
	s_mov_b32 s9, 0
.LBB30_41:                              ; =>This Inner Loop Header: Depth=1
	;;#ASMSTART
	global_load_dwordx4 v[3:6], v[10:11] off glc	
s_waitcnt vmcnt(0)
	;;#ASMEND
	v_and_b32_e32 v6, 0xff, v5
	s_delay_alu instid0(VALU_DEP_1) | instskip(SKIP_1) | instid1(SALU_CYCLE_1)
	v_cmp_ne_u16_e32 vcc_lo, 0, v6
	s_or_b32 s9, vcc_lo, s9
	s_and_not1_b32 exec_lo, exec_lo, s9
	s_cbranch_execnz .LBB30_41
; %bb.42:
	s_or_b32 exec_lo, exec_lo, s9
.LBB30_43:
	s_delay_alu instid0(SALU_CYCLE_1)
	s_or_b32 exec_lo, exec_lo, s8
	v_cmp_ne_u32_e32 vcc_lo, 31, v12
	v_dual_mov_b32 v11, v4 :: v_dual_and_b32 v10, 0xff, v5
	v_lshlrev_b32_e64 v16, v12, -1
	v_add_nc_u32_e32 v17, 1, v12
	v_add_co_ci_u32_e32 v6, vcc_lo, 0, v12, vcc_lo
	s_delay_alu instid0(VALU_DEP_4) | instskip(SKIP_1) | instid1(VALU_DEP_2)
	v_cmp_eq_u16_e32 vcc_lo, 2, v10
	s_mov_b32 s8, exec_lo
	v_dual_mov_b32 v10, v3 :: v_dual_lshlrev_b32 v15, 2, v6
	v_and_or_b32 v6, vcc_lo, v16, 0x80000000
	ds_bpermute_b32 v13, v15, v3
	ds_bpermute_b32 v14, v15, v4
	v_ctz_i32_b32_e32 v6, v6
	s_delay_alu instid0(VALU_DEP_1)
	v_cmpx_le_u32_e64 v17, v6
	s_cbranch_execz .LBB30_45
; %bb.44:
	s_waitcnt lgkmcnt(0)
	v_mul_lo_u32 v14, v14, v3
	v_mul_lo_u32 v4, v13, v4
	v_mad_u64_u32 v[10:11], null, v13, v3, 0
	s_delay_alu instid0(VALU_DEP_1) | instskip(NEXT) | instid1(VALU_DEP_1)
	v_add3_u32 v11, v11, v4, v14
	v_dual_mov_b32 v3, v10 :: v_dual_mov_b32 v4, v11
.LBB30_45:
	s_or_b32 exec_lo, exec_lo, s8
	v_cmp_gt_u32_e32 vcc_lo, 30, v12
	v_add_nc_u32_e32 v19, 2, v12
	s_mov_b32 s8, exec_lo
	s_waitcnt lgkmcnt(1)
	v_cndmask_b32_e64 v13, 0, 1, vcc_lo
	s_delay_alu instid0(VALU_DEP_1) | instskip(NEXT) | instid1(VALU_DEP_1)
	v_lshlrev_b32_e32 v13, 1, v13
	v_add_lshl_u32 v18, v13, v12, 2
	ds_bpermute_b32 v13, v18, v10
	s_waitcnt lgkmcnt(1)
	ds_bpermute_b32 v14, v18, v11
	v_cmpx_le_u32_e64 v19, v6
	s_cbranch_execz .LBB30_47
; %bb.46:
	s_waitcnt lgkmcnt(0)
	v_mul_lo_u32 v14, v14, v3
	v_mul_lo_u32 v4, v13, v4
	v_mad_u64_u32 v[10:11], null, v13, v3, 0
	s_delay_alu instid0(VALU_DEP_1) | instskip(NEXT) | instid1(VALU_DEP_1)
	v_add3_u32 v11, v11, v4, v14
	v_dual_mov_b32 v3, v10 :: v_dual_mov_b32 v4, v11
.LBB30_47:
	s_or_b32 exec_lo, exec_lo, s8
	v_cmp_gt_u32_e32 vcc_lo, 28, v12
	v_add_nc_u32_e32 v21, 4, v12
	s_mov_b32 s8, exec_lo
	s_waitcnt lgkmcnt(1)
	v_cndmask_b32_e64 v13, 0, 1, vcc_lo
	s_delay_alu instid0(VALU_DEP_1) | instskip(NEXT) | instid1(VALU_DEP_1)
	v_lshlrev_b32_e32 v13, 2, v13
	v_add_lshl_u32 v20, v13, v12, 2
	ds_bpermute_b32 v13, v20, v10
	s_waitcnt lgkmcnt(1)
	ds_bpermute_b32 v14, v20, v11
	;; [unrolled: 23-line block ×3, first 2 shown]
	v_cmpx_le_u32_e64 v23, v6
	s_cbranch_execz .LBB30_51
; %bb.50:
	s_waitcnt lgkmcnt(0)
	v_mul_lo_u32 v14, v14, v3
	v_mul_lo_u32 v4, v13, v4
	v_mad_u64_u32 v[10:11], null, v13, v3, 0
	s_delay_alu instid0(VALU_DEP_1) | instskip(NEXT) | instid1(VALU_DEP_1)
	v_add3_u32 v11, v11, v4, v14
	v_dual_mov_b32 v3, v10 :: v_dual_mov_b32 v4, v11
.LBB30_51:
	s_or_b32 exec_lo, exec_lo, s8
	v_cmp_gt_u32_e32 vcc_lo, 16, v12
	v_add_nc_u32_e32 v25, 16, v12
	s_mov_b32 s8, exec_lo
	s_waitcnt lgkmcnt(1)
	v_cndmask_b32_e64 v13, 0, 1, vcc_lo
	s_delay_alu instid0(VALU_DEP_1) | instskip(NEXT) | instid1(VALU_DEP_1)
	v_lshlrev_b32_e32 v13, 4, v13
	v_add_lshl_u32 v24, v13, v12, 2
	ds_bpermute_b32 v10, v24, v10
	ds_bpermute_b32 v11, v24, v11
	v_cmpx_le_u32_e64 v25, v6
	s_cbranch_execz .LBB30_53
; %bb.52:
	s_waitcnt lgkmcnt(0)
	v_mul_lo_u32 v6, v11, v3
	v_mul_lo_u32 v4, v10, v4
	v_mad_u64_u32 v[11:12], null, v10, v3, 0
	s_delay_alu instid0(VALU_DEP_1) | instskip(NEXT) | instid1(VALU_DEP_1)
	v_add3_u32 v12, v12, v4, v6
	v_dual_mov_b32 v3, v11 :: v_dual_mov_b32 v4, v12
.LBB30_53:
	s_or_b32 exec_lo, exec_lo, s8
	s_waitcnt lgkmcnt(2)
	s_delay_alu instid0(VALU_DEP_1)
	v_mov_b32_e32 v14, v4
	s_waitcnt lgkmcnt(1)
	v_dual_mov_b32 v10, 0 :: v_dual_mov_b32 v13, v3
	s_branch .LBB30_55
.LBB30_54:                              ;   in Loop: Header=BB30_55 Depth=1
	s_or_b32 exec_lo, exec_lo, s8
	s_delay_alu instid0(VALU_DEP_1) | instskip(NEXT) | instid1(VALU_DEP_2)
	v_mul_lo_u32 v4, v4, v11
	v_mul_lo_u32 v6, v3, v12
	s_waitcnt lgkmcnt(0)
	v_mad_u64_u32 v[13:14], null, v3, v11, 0
	v_subrev_nc_u32_e32 v9, 32, v9
	s_delay_alu instid0(VALU_DEP_2)
	v_add3_u32 v14, v14, v6, v4
.LBB30_55:                              ; =>This Loop Header: Depth=1
                                        ;     Child Loop BB30_58 Depth 2
	v_and_b32_e32 v3, 0xff, v5
	s_waitcnt lgkmcnt(0)
	s_delay_alu instid0(VALU_DEP_2) | instskip(NEXT) | instid1(VALU_DEP_2)
	v_dual_mov_b32 v11, v13 :: v_dual_mov_b32 v12, v14
	v_cmp_ne_u16_e32 vcc_lo, 2, v3
	v_cndmask_b32_e64 v3, 0, 1, vcc_lo
	;;#ASMSTART
	;;#ASMEND
	s_delay_alu instid0(VALU_DEP_1)
	v_cmp_ne_u32_e32 vcc_lo, 0, v3
	s_cmp_lg_u32 vcc_lo, exec_lo
	s_cbranch_scc1 .LBB30_70
; %bb.56:                               ;   in Loop: Header=BB30_55 Depth=1
	v_lshlrev_b64 v[3:4], 4, v[9:10]
	s_mov_b32 s8, exec_lo
	s_delay_alu instid0(VALU_DEP_1) | instskip(NEXT) | instid1(VALU_DEP_2)
	v_add_co_u32 v13, vcc_lo, s4, v3
	v_add_co_ci_u32_e32 v14, vcc_lo, s5, v4, vcc_lo
	;;#ASMSTART
	global_load_dwordx4 v[3:6], v[13:14] off glc	
s_waitcnt vmcnt(0)
	;;#ASMEND
	v_and_b32_e32 v6, 0xff, v5
	s_delay_alu instid0(VALU_DEP_1)
	v_cmpx_eq_u16_e32 0, v6
	s_cbranch_execz .LBB30_60
; %bb.57:                               ;   in Loop: Header=BB30_55 Depth=1
	s_mov_b32 s9, 0
.LBB30_58:                              ;   Parent Loop BB30_55 Depth=1
                                        ; =>  This Inner Loop Header: Depth=2
	;;#ASMSTART
	global_load_dwordx4 v[3:6], v[13:14] off glc	
s_waitcnt vmcnt(0)
	;;#ASMEND
	v_and_b32_e32 v6, 0xff, v5
	s_delay_alu instid0(VALU_DEP_1) | instskip(SKIP_1) | instid1(SALU_CYCLE_1)
	v_cmp_ne_u16_e32 vcc_lo, 0, v6
	s_or_b32 s9, vcc_lo, s9
	s_and_not1_b32 exec_lo, exec_lo, s9
	s_cbranch_execnz .LBB30_58
; %bb.59:                               ;   in Loop: Header=BB30_55 Depth=1
	s_or_b32 exec_lo, exec_lo, s9
.LBB30_60:                              ;   in Loop: Header=BB30_55 Depth=1
	s_delay_alu instid0(SALU_CYCLE_1)
	s_or_b32 exec_lo, exec_lo, s8
	v_dual_mov_b32 v13, v3 :: v_dual_and_b32 v6, 0xff, v5
	ds_bpermute_b32 v26, v15, v3
	ds_bpermute_b32 v27, v15, v4
	v_mov_b32_e32 v14, v4
	v_cmp_eq_u16_e32 vcc_lo, 2, v6
	s_mov_b32 s8, exec_lo
	v_and_or_b32 v6, vcc_lo, v16, 0x80000000
	s_delay_alu instid0(VALU_DEP_1) | instskip(NEXT) | instid1(VALU_DEP_1)
	v_ctz_i32_b32_e32 v6, v6
	v_cmpx_le_u32_e64 v17, v6
	s_cbranch_execz .LBB30_62
; %bb.61:                               ;   in Loop: Header=BB30_55 Depth=1
	s_waitcnt lgkmcnt(0)
	v_mul_lo_u32 v27, v27, v3
	v_mul_lo_u32 v4, v26, v4
	v_mad_u64_u32 v[13:14], null, v26, v3, 0
	s_delay_alu instid0(VALU_DEP_1) | instskip(NEXT) | instid1(VALU_DEP_1)
	v_add3_u32 v14, v14, v4, v27
	v_dual_mov_b32 v3, v13 :: v_dual_mov_b32 v4, v14
.LBB30_62:                              ;   in Loop: Header=BB30_55 Depth=1
	s_or_b32 exec_lo, exec_lo, s8
	s_waitcnt lgkmcnt(1)
	ds_bpermute_b32 v26, v18, v13
	s_waitcnt lgkmcnt(1)
	ds_bpermute_b32 v27, v18, v14
	s_mov_b32 s8, exec_lo
	v_cmpx_le_u32_e64 v19, v6
	s_cbranch_execz .LBB30_64
; %bb.63:                               ;   in Loop: Header=BB30_55 Depth=1
	s_waitcnt lgkmcnt(0)
	v_mul_lo_u32 v27, v27, v3
	v_mul_lo_u32 v4, v26, v4
	v_mad_u64_u32 v[13:14], null, v26, v3, 0
	s_delay_alu instid0(VALU_DEP_1) | instskip(NEXT) | instid1(VALU_DEP_1)
	v_add3_u32 v14, v14, v4, v27
	v_dual_mov_b32 v3, v13 :: v_dual_mov_b32 v4, v14
.LBB30_64:                              ;   in Loop: Header=BB30_55 Depth=1
	s_or_b32 exec_lo, exec_lo, s8
	s_waitcnt lgkmcnt(1)
	ds_bpermute_b32 v26, v20, v13
	s_waitcnt lgkmcnt(1)
	ds_bpermute_b32 v27, v20, v14
	s_mov_b32 s8, exec_lo
	v_cmpx_le_u32_e64 v21, v6
	s_cbranch_execz .LBB30_66
; %bb.65:                               ;   in Loop: Header=BB30_55 Depth=1
	s_waitcnt lgkmcnt(0)
	v_mul_lo_u32 v27, v27, v3
	v_mul_lo_u32 v4, v26, v4
	v_mad_u64_u32 v[13:14], null, v26, v3, 0
	s_delay_alu instid0(VALU_DEP_1) | instskip(NEXT) | instid1(VALU_DEP_1)
	v_add3_u32 v14, v14, v4, v27
	v_dual_mov_b32 v3, v13 :: v_dual_mov_b32 v4, v14
.LBB30_66:                              ;   in Loop: Header=BB30_55 Depth=1
	s_or_b32 exec_lo, exec_lo, s8
	s_waitcnt lgkmcnt(1)
	ds_bpermute_b32 v26, v22, v13
	s_waitcnt lgkmcnt(1)
	ds_bpermute_b32 v27, v22, v14
	s_mov_b32 s8, exec_lo
	v_cmpx_le_u32_e64 v23, v6
	s_cbranch_execz .LBB30_68
; %bb.67:                               ;   in Loop: Header=BB30_55 Depth=1
	s_waitcnt lgkmcnt(0)
	v_mul_lo_u32 v27, v27, v3
	v_mul_lo_u32 v4, v26, v4
	v_mad_u64_u32 v[13:14], null, v26, v3, 0
	s_delay_alu instid0(VALU_DEP_1) | instskip(NEXT) | instid1(VALU_DEP_1)
	v_add3_u32 v14, v14, v4, v27
	v_dual_mov_b32 v3, v13 :: v_dual_mov_b32 v4, v14
.LBB30_68:                              ;   in Loop: Header=BB30_55 Depth=1
	s_or_b32 exec_lo, exec_lo, s8
	ds_bpermute_b32 v13, v24, v13
	ds_bpermute_b32 v14, v24, v14
	s_mov_b32 s8, exec_lo
	v_cmpx_le_u32_e64 v25, v6
	s_cbranch_execz .LBB30_54
; %bb.69:                               ;   in Loop: Header=BB30_55 Depth=1
	s_waitcnt lgkmcnt(0)
	v_mul_lo_u32 v6, v14, v3
	v_mul_lo_u32 v4, v13, v4
	v_mad_u64_u32 v[26:27], null, v13, v3, 0
	s_delay_alu instid0(VALU_DEP_1) | instskip(NEXT) | instid1(VALU_DEP_1)
	v_add3_u32 v27, v27, v4, v6
	v_dual_mov_b32 v3, v26 :: v_dual_mov_b32 v4, v27
	s_branch .LBB30_54
.LBB30_70:                              ;   in Loop: Header=BB30_55 Depth=1
                                        ; implicit-def: $vgpr13_vgpr14
                                        ; implicit-def: $vgpr5
	s_cbranch_execz .LBB30_55
; %bb.71:
	s_and_saveexec_b32 s8, s3
	s_cbranch_execz .LBB30_73
; %bb.72:
	v_mul_lo_u32 v4, v12, v1
	v_mul_lo_u32 v5, v11, v2
	v_mad_u64_u32 v[2:3], null, v11, v1, 0
	s_add_i32 s18, s15, 32
	s_mov_b32 s19, 0
	s_delay_alu instid0(SALU_CYCLE_1) | instskip(NEXT) | instid1(SALU_CYCLE_1)
	s_lshl_b64 s[18:19], s[18:19], 4
	s_add_u32 s18, s4, s18
	s_addc_u32 s19, s5, s19
	s_delay_alu instid0(VALU_DEP_1)
	v_add3_u32 v3, v3, v5, v4
	v_dual_mov_b32 v4, 2 :: v_dual_mov_b32 v5, 0
	v_dual_mov_b32 v9, s18 :: v_dual_mov_b32 v10, s19
	;;#ASMSTART
	global_store_dwordx4 v[9:10], v[2:5] off	
s_waitcnt vmcnt(0)
	;;#ASMEND
.LBB30_73:
	s_or_b32 exec_lo, exec_lo, s8
	s_delay_alu instid0(SALU_CYCLE_1)
	s_and_b32 exec_lo, exec_lo, s2
	s_cbranch_execz .LBB30_75
; %bb.74:
	v_mov_b32_e32 v1, 0
	ds_store_b64 v1, v[11:12]
.LBB30_75:
	s_or_b32 exec_lo, exec_lo, s10
	v_mov_b32_e32 v1, 0
	s_waitcnt lgkmcnt(0)
	s_barrier
	buffer_gl0_inv
	v_mul_lo_u32 v2, v7, v62
	ds_load_b64 v[3:4], v1
	v_mul_lo_u32 v1, v8, v61
	v_mad_u64_u32 v[5:6], null, v7, v61, 0
	s_delay_alu instid0(VALU_DEP_1) | instskip(SKIP_1) | instid1(VALU_DEP_1)
	v_add3_u32 v1, v6, v2, v1
	s_waitcnt lgkmcnt(0)
	v_mul_lo_u32 v6, v1, v3
	s_delay_alu instid0(VALU_DEP_3) | instskip(SKIP_1) | instid1(VALU_DEP_1)
	v_mul_lo_u32 v4, v5, v4
	v_mad_u64_u32 v[1:2], null, v5, v3, 0
	v_add3_u32 v2, v2, v4, v6
	s_delay_alu instid0(VALU_DEP_2) | instskip(SKIP_1) | instid1(VALU_DEP_3)
	v_mul_lo_u32 v5, v1, v64
	v_mad_u64_u32 v[3:4], null, v1, v63, 0
	v_mul_lo_u32 v6, v2, v63
	s_delay_alu instid0(VALU_DEP_2) | instskip(NEXT) | instid1(VALU_DEP_2)
	v_mul_lo_u32 v7, v3, v58
	v_add3_u32 v4, v4, v5, v6
	v_mad_u64_u32 v[5:6], null, v3, v57, 0
	s_delay_alu instid0(VALU_DEP_2) | instskip(NEXT) | instid1(VALU_DEP_2)
	v_mul_lo_u32 v8, v4, v57
	v_mul_lo_u32 v9, v5, v60
	s_delay_alu instid0(VALU_DEP_2) | instskip(SKIP_1) | instid1(VALU_DEP_2)
	v_add3_u32 v6, v6, v7, v8
	v_mad_u64_u32 v[7:8], null, v5, v59, 0
	v_mul_lo_u32 v10, v6, v59
	s_delay_alu instid0(VALU_DEP_2) | instskip(NEXT) | instid1(VALU_DEP_2)
	v_mul_lo_u32 v11, v7, v54
	v_add3_u32 v8, v8, v9, v10
	v_mad_u64_u32 v[9:10], null, v7, v53, 0
	s_delay_alu instid0(VALU_DEP_2) | instskip(NEXT) | instid1(VALU_DEP_2)
	v_mul_lo_u32 v12, v8, v53
	v_mul_lo_u32 v13, v9, v56
	s_delay_alu instid0(VALU_DEP_2) | instskip(SKIP_1) | instid1(VALU_DEP_2)
	v_add3_u32 v10, v10, v11, v12
	;; [unrolled: 11-line block ×7, first 2 shown]
	v_mad_u64_u32 v[31:32], null, v29, v35, 0
	v_mul_lo_u32 v84, v30, v35
	s_delay_alu instid0(VALU_DEP_1)
	v_add3_u32 v32, v32, v83, v84
	s_load_b128 s[8:11], s[0:1], 0x38
	s_branch .LBB30_96
.LBB30_76:
                                        ; implicit-def: $vgpr1_vgpr2_vgpr3_vgpr4_vgpr5_vgpr6_vgpr7_vgpr8_vgpr9_vgpr10_vgpr11_vgpr12_vgpr13_vgpr14_vgpr15_vgpr16_vgpr17_vgpr18_vgpr19_vgpr20_vgpr21_vgpr22_vgpr23_vgpr24_vgpr25_vgpr26_vgpr27_vgpr28_vgpr29_vgpr30_vgpr31_vgpr32
	s_load_b128 s[8:11], s[0:1], 0x38
	s_cbranch_execz .LBB30_96
; %bb.77:
	s_load_b32 s2, s[0:1], 0x48
	v_cmp_eq_u32_e32 vcc_lo, 0, v0
	s_waitcnt lgkmcnt(0)
	s_bitcmp1_b32 s2, 0
	v_cmp_ne_u32_e64 s2, 0, v0
	s_cselect_b32 s3, -1, 0
	s_delay_alu instid0(SALU_CYCLE_1) | instskip(NEXT) | instid1(SALU_CYCLE_1)
	s_and_b32 s15, vcc_lo, s3
	s_and_saveexec_b32 s3, s15
	s_cbranch_execz .LBB30_79
; %bb.78:
	s_load_b64 s[8:9], s[8:9], 0x0
	s_waitcnt lgkmcnt(0)
	v_mul_lo_u32 v3, s9, v61
	v_mul_lo_u32 v4, s8, v62
	v_mad_u64_u32 v[1:2], null, s8, v61, 0
	s_delay_alu instid0(VALU_DEP_1) | instskip(NEXT) | instid1(VALU_DEP_1)
	v_add3_u32 v2, v2, v4, v3
	v_dual_mov_b32 v62, v2 :: v_dual_mov_b32 v61, v1
.LBB30_79:
	s_or_b32 exec_lo, exec_lo, s3
	s_delay_alu instid0(VALU_DEP_1) | instskip(NEXT) | instid1(VALU_DEP_2)
	v_mul_lo_u32 v3, v64, v61
	v_mul_lo_u32 v4, v63, v62
	v_mad_u64_u32 v[1:2], null, v63, v61, 0
	s_mov_b32 s8, exec_lo
	s_delay_alu instid0(VALU_DEP_1) | instskip(NEXT) | instid1(VALU_DEP_2)
	v_add3_u32 v4, v2, v4, v3
	v_mul_lo_u32 v5, v1, v58
	v_mad_u64_u32 v[2:3], null, v1, v57, 0
	s_delay_alu instid0(VALU_DEP_3) | instskip(NEXT) | instid1(VALU_DEP_1)
	v_mul_lo_u32 v1, v4, v57
	v_add3_u32 v1, v3, v5, v1
	s_delay_alu instid0(VALU_DEP_3) | instskip(SKIP_1) | instid1(VALU_DEP_3)
	v_mul_lo_u32 v5, v2, v60
	v_mad_u64_u32 v[3:4], null, v2, v59, 0
	v_mul_lo_u32 v1, v1, v59
	s_delay_alu instid0(VALU_DEP_1) | instskip(NEXT) | instid1(VALU_DEP_3)
	v_add3_u32 v4, v4, v5, v1
	v_mul_lo_u32 v5, v3, v54
	v_mad_u64_u32 v[1:2], null, v3, v53, 0
	s_delay_alu instid0(VALU_DEP_3) | instskip(NEXT) | instid1(VALU_DEP_1)
	v_mul_lo_u32 v3, v4, v53
	v_add3_u32 v4, v2, v5, v3
	s_delay_alu instid0(VALU_DEP_3) | instskip(SKIP_1) | instid1(VALU_DEP_3)
	v_mul_lo_u32 v5, v1, v56
	v_mad_u64_u32 v[2:3], null, v1, v55, 0
	v_mul_lo_u32 v1, v4, v55
	s_delay_alu instid0(VALU_DEP_1) | instskip(NEXT) | instid1(VALU_DEP_3)
	;; [unrolled: 11-line block ×6, first 2 shown]
	v_add3_u32 v4, v2, v5, v3
	v_mul_lo_u32 v5, v1, v34
	v_mad_u64_u32 v[2:3], null, v1, v33, 0
	s_delay_alu instid0(VALU_DEP_3) | instskip(NEXT) | instid1(VALU_DEP_2)
	v_mul_lo_u32 v1, v4, v33
	v_mad_u64_u32 v[17:18], null, v2, v35, 0
	s_delay_alu instid0(VALU_DEP_2) | instskip(SKIP_2) | instid1(VALU_DEP_3)
	v_add3_u32 v1, v3, v5, v1
	v_mul_lo_u32 v3, v2, v36
	v_add_lshl_u32 v2, v81, v0, 3
	v_mul_lo_u32 v1, v1, v35
	s_delay_alu instid0(VALU_DEP_1)
	v_add3_u32 v18, v18, v3, v1
	ds_store_b64 v2, v[17:18]
	s_waitcnt lgkmcnt(0)
	s_barrier
	buffer_gl0_inv
	v_cmpx_gt_u32_e32 32, v0
	s_cbranch_execz .LBB30_91
; %bb.80:
	v_lshlrev_b32_e32 v1, 1, v0
	s_mov_b32 s9, exec_lo
	s_delay_alu instid0(VALU_DEP_1) | instskip(NEXT) | instid1(VALU_DEP_1)
	v_and_b32_e32 v1, 0x1f8, v1
	v_lshl_or_b32 v23, v0, 6, v1
	ds_load_2addr_b64 v[13:16], v23 offset1:1
	ds_load_2addr_b64 v[9:12], v23 offset0:2 offset1:3
	ds_load_2addr_b64 v[5:8], v23 offset0:4 offset1:5
	s_waitcnt lgkmcnt(2)
	v_mul_lo_u32 v3, v16, v13
	v_mul_lo_u32 v4, v15, v14
	v_mad_u64_u32 v[1:2], null, v15, v13, 0
	s_delay_alu instid0(VALU_DEP_1) | instskip(SKIP_1) | instid1(VALU_DEP_2)
	v_add3_u32 v4, v2, v4, v3
	s_waitcnt lgkmcnt(1)
	v_mul_lo_u32 v19, v1, v10
	v_mad_u64_u32 v[2:3], null, v1, v9, 0
	s_delay_alu instid0(VALU_DEP_3) | instskip(NEXT) | instid1(VALU_DEP_1)
	v_mul_lo_u32 v1, v4, v9
	v_add3_u32 v1, v3, v19, v1
	s_delay_alu instid0(VALU_DEP_3) | instskip(SKIP_1) | instid1(VALU_DEP_3)
	v_mul_lo_u32 v3, v2, v12
	v_mad_u64_u32 v[19:20], null, v2, v11, 0
	v_mul_lo_u32 v1, v1, v11
	s_delay_alu instid0(VALU_DEP_1)
	v_add3_u32 v22, v20, v3, v1
	ds_load_2addr_b64 v[1:4], v23 offset0:6 offset1:7
	s_waitcnt lgkmcnt(1)
	v_mul_lo_u32 v24, v19, v6
	v_mad_u64_u32 v[20:21], null, v19, v5, 0
	v_mul_lo_u32 v19, v22, v5
	s_delay_alu instid0(VALU_DEP_1) | instskip(NEXT) | instid1(VALU_DEP_3)
	v_add3_u32 v19, v21, v24, v19
	v_mul_lo_u32 v24, v20, v8
	v_mad_u64_u32 v[21:22], null, v20, v7, 0
	s_delay_alu instid0(VALU_DEP_3) | instskip(SKIP_1) | instid1(VALU_DEP_2)
	v_mul_lo_u32 v19, v19, v7
	s_waitcnt lgkmcnt(0)
	v_mul_lo_u32 v20, v21, v2
	s_delay_alu instid0(VALU_DEP_2) | instskip(SKIP_1) | instid1(VALU_DEP_2)
	v_add3_u32 v19, v22, v24, v19
	v_mad_u64_u32 v[24:25], null, v21, v1, 0
	v_mul_lo_u32 v19, v19, v1
	s_delay_alu instid0(VALU_DEP_2) | instskip(NEXT) | instid1(VALU_DEP_2)
	v_mul_lo_u32 v22, v24, v4
	v_add3_u32 v21, v25, v20, v19
	v_mad_u64_u32 v[19:20], null, v24, v3, 0
	v_mbcnt_lo_u32_b32 v24, -1, 0
	s_delay_alu instid0(VALU_DEP_3) | instskip(NEXT) | instid1(VALU_DEP_2)
	v_mul_lo_u32 v21, v21, v3
	v_and_b32_e32 v25, 15, v24
	s_delay_alu instid0(VALU_DEP_4) | instskip(NEXT) | instid1(VALU_DEP_3)
	v_mov_b32_dpp v26, v19 row_shr:1 row_mask:0xf bank_mask:0xf
	v_add3_u32 v20, v20, v22, v21
	s_delay_alu instid0(VALU_DEP_1)
	v_mov_b32_e32 v22, v20
	v_mov_b32_dpp v27, v20 row_shr:1 row_mask:0xf bank_mask:0xf
	v_mov_b32_e32 v21, v19
	v_cmpx_ne_u32_e32 0, v25
; %bb.81:
	s_delay_alu instid0(VALU_DEP_3) | instskip(SKIP_2) | instid1(VALU_DEP_1)
	v_mul_lo_u32 v27, v27, v19
	v_mul_lo_u32 v20, v26, v20
	v_mad_u64_u32 v[21:22], null, v26, v19, 0
	v_add3_u32 v22, v22, v20, v27
	s_delay_alu instid0(VALU_DEP_1)
	v_dual_mov_b32 v19, v21 :: v_dual_mov_b32 v20, v22
; %bb.82:
	s_or_b32 exec_lo, exec_lo, s9
	s_delay_alu instid0(VALU_DEP_1) | instskip(NEXT) | instid1(VALU_DEP_2)
	v_mov_b32_dpp v26, v19 row_shr:2 row_mask:0xf bank_mask:0xf
	v_mov_b32_dpp v27, v20 row_shr:2 row_mask:0xf bank_mask:0xf
	s_mov_b32 s9, exec_lo
	v_cmpx_lt_u32_e32 1, v25
; %bb.83:
	s_delay_alu instid0(VALU_DEP_2) | instskip(SKIP_2) | instid1(VALU_DEP_1)
	v_mul_lo_u32 v27, v27, v21
	v_mul_lo_u32 v22, v26, v22
	v_mad_u64_u32 v[19:20], null, v26, v21, 0
	v_add3_u32 v20, v20, v22, v27
	s_delay_alu instid0(VALU_DEP_1)
	v_dual_mov_b32 v22, v20 :: v_dual_mov_b32 v21, v19
; %bb.84:
	s_or_b32 exec_lo, exec_lo, s9
	v_mov_b32_dpp v26, v19 row_shr:4 row_mask:0xf bank_mask:0xf
	v_mov_b32_dpp v27, v20 row_shr:4 row_mask:0xf bank_mask:0xf
	s_mov_b32 s9, exec_lo
	v_cmpx_lt_u32_e32 3, v25
; %bb.85:
	s_delay_alu instid0(VALU_DEP_2) | instskip(SKIP_2) | instid1(VALU_DEP_1)
	v_mul_lo_u32 v27, v27, v21
	v_mul_lo_u32 v22, v26, v22
	v_mad_u64_u32 v[19:20], null, v26, v21, 0
	v_add3_u32 v20, v20, v22, v27
	s_delay_alu instid0(VALU_DEP_1)
	v_dual_mov_b32 v22, v20 :: v_dual_mov_b32 v21, v19
; %bb.86:
	s_or_b32 exec_lo, exec_lo, s9
	;; [unrolled: 14-line block ×3, first 2 shown]
	ds_swizzle_b32 v25, v19 offset:swizzle(BROADCAST,32,15)
	ds_swizzle_b32 v26, v20 offset:swizzle(BROADCAST,32,15)
	v_and_b32_e32 v27, 16, v24
	s_mov_b32 s9, exec_lo
	s_delay_alu instid0(VALU_DEP_1)
	v_cmpx_ne_u32_e32 0, v27
	s_cbranch_execz .LBB30_90
; %bb.89:
	s_waitcnt lgkmcnt(0)
	v_mul_lo_u32 v26, v26, v21
	v_mul_lo_u32 v22, v25, v22
	v_mad_u64_u32 v[19:20], null, v25, v21, 0
	s_delay_alu instid0(VALU_DEP_1)
	v_add3_u32 v20, v20, v22, v26
.LBB30_90:
	s_or_b32 exec_lo, exec_lo, s9
	v_add_nc_u32_e32 v21, -1, v24
	s_delay_alu instid0(VALU_DEP_1) | instskip(NEXT) | instid1(VALU_DEP_1)
	v_cmp_gt_i32_e64 s3, 0, v21
	v_cndmask_b32_e64 v21, v21, v24, s3
	s_delay_alu instid0(VALU_DEP_1)
	v_lshlrev_b32_e32 v21, 2, v21
	ds_bpermute_b32 v20, v21, v20
	ds_bpermute_b32 v21, v21, v19
	s_waitcnt lgkmcnt(1)
	v_mul_lo_u32 v22, v20, v13
	s_waitcnt lgkmcnt(0)
	v_mul_lo_u32 v14, v21, v14
	v_mad_u64_u32 v[19:20], null, v21, v13, 0
	s_delay_alu instid0(VALU_DEP_1) | instskip(NEXT) | instid1(VALU_DEP_1)
	v_add3_u32 v14, v20, v14, v22
	v_dual_cndmask_b32 v13, v19, v17 :: v_dual_cndmask_b32 v14, v14, v18
	s_delay_alu instid0(VALU_DEP_1) | instskip(SKIP_1) | instid1(VALU_DEP_3)
	v_mul_lo_u32 v18, v13, v16
	v_mad_u64_u32 v[16:17], null, v13, v15, 0
	v_mul_lo_u32 v15, v14, v15
	s_delay_alu instid0(VALU_DEP_2) | instskip(NEXT) | instid1(VALU_DEP_2)
	v_mul_lo_u32 v10, v16, v10
	v_add3_u32 v17, v17, v18, v15
	v_mad_u64_u32 v[18:19], null, v16, v9, 0
	s_delay_alu instid0(VALU_DEP_2) | instskip(NEXT) | instid1(VALU_DEP_2)
	v_mul_lo_u32 v9, v17, v9
	v_mul_lo_u32 v12, v18, v12
	s_delay_alu instid0(VALU_DEP_2) | instskip(SKIP_1) | instid1(VALU_DEP_2)
	v_add3_u32 v19, v19, v10, v9
	v_mad_u64_u32 v[9:10], null, v18, v11, 0
	v_mul_lo_u32 v11, v19, v11
	s_delay_alu instid0(VALU_DEP_2) | instskip(NEXT) | instid1(VALU_DEP_2)
	v_mul_lo_u32 v6, v9, v6
	v_add3_u32 v10, v10, v12, v11
	v_mad_u64_u32 v[11:12], null, v9, v5, 0
	s_delay_alu instid0(VALU_DEP_2) | instskip(NEXT) | instid1(VALU_DEP_2)
	v_mul_lo_u32 v5, v10, v5
	v_mul_lo_u32 v8, v11, v8
	s_delay_alu instid0(VALU_DEP_2) | instskip(SKIP_1) | instid1(VALU_DEP_2)
	v_add3_u32 v12, v12, v6, v5
	v_mad_u64_u32 v[5:6], null, v11, v7, 0
	v_mul_lo_u32 v7, v12, v7
	s_delay_alu instid0(VALU_DEP_2) | instskip(NEXT) | instid1(VALU_DEP_2)
	v_mul_lo_u32 v2, v5, v2
	v_add3_u32 v6, v6, v8, v7
	v_mad_u64_u32 v[7:8], null, v5, v1, 0
	s_delay_alu instid0(VALU_DEP_2) | instskip(NEXT) | instid1(VALU_DEP_2)
	v_mul_lo_u32 v1, v6, v1
	v_mul_lo_u32 v4, v7, v4
	s_delay_alu instid0(VALU_DEP_2) | instskip(SKIP_1) | instid1(VALU_DEP_2)
	v_add3_u32 v8, v8, v2, v1
	v_mad_u64_u32 v[1:2], null, v7, v3, 0
	v_mul_lo_u32 v15, v8, v3
	s_delay_alu instid0(VALU_DEP_1)
	v_add3_u32 v2, v2, v4, v15
	ds_store_2addr_b64 v23, v[13:14], v[16:17] offset1:1
	ds_store_2addr_b64 v23, v[18:19], v[9:10] offset0:2 offset1:3
	ds_store_2addr_b64 v23, v[11:12], v[5:6] offset0:4 offset1:5
	;; [unrolled: 1-line block ×3, first 2 shown]
.LBB30_91:
	s_or_b32 exec_lo, exec_lo, s8
	v_mov_b32_e32 v3, 1
	v_mov_b32_e32 v4, 0
	s_waitcnt lgkmcnt(0)
	s_barrier
	buffer_gl0_inv
	s_and_saveexec_b32 s3, s2
	s_cbranch_execz .LBB30_93
; %bb.92:
	v_add_nc_u32_e32 v1, -1, v0
	s_delay_alu instid0(VALU_DEP_1) | instskip(NEXT) | instid1(VALU_DEP_1)
	v_lshrrev_b32_e32 v2, 5, v1
	v_add_lshl_u32 v1, v2, v1, 3
	ds_load_b64 v[3:4], v1
.LBB30_93:
	s_or_b32 exec_lo, exec_lo, s3
	s_waitcnt lgkmcnt(0)
	v_mul_lo_u32 v4, v4, v61
	v_mul_lo_u32 v5, v3, v62
	v_mad_u64_u32 v[1:2], null, v3, v61, 0
	s_delay_alu instid0(VALU_DEP_1) | instskip(NEXT) | instid1(VALU_DEP_2)
	v_add3_u32 v2, v2, v5, v4
	v_mul_lo_u32 v5, v1, v64
	v_mad_u64_u32 v[3:4], null, v1, v63, 0
	s_delay_alu instid0(VALU_DEP_3) | instskip(NEXT) | instid1(VALU_DEP_2)
	v_mul_lo_u32 v6, v2, v63
	v_mul_lo_u32 v7, v3, v58
	s_delay_alu instid0(VALU_DEP_2) | instskip(SKIP_1) | instid1(VALU_DEP_2)
	v_add3_u32 v4, v4, v5, v6
	v_mad_u64_u32 v[5:6], null, v3, v57, 0
	v_mul_lo_u32 v8, v4, v57
	s_delay_alu instid0(VALU_DEP_2) | instskip(NEXT) | instid1(VALU_DEP_2)
	v_mul_lo_u32 v9, v5, v60
	v_add3_u32 v6, v6, v7, v8
	v_mad_u64_u32 v[7:8], null, v5, v59, 0
	s_delay_alu instid0(VALU_DEP_2) | instskip(NEXT) | instid1(VALU_DEP_2)
	v_mul_lo_u32 v10, v6, v59
	v_mul_lo_u32 v11, v7, v54
	s_delay_alu instid0(VALU_DEP_2) | instskip(SKIP_1) | instid1(VALU_DEP_2)
	v_add3_u32 v8, v8, v9, v10
	v_mad_u64_u32 v[9:10], null, v7, v53, 0
	v_mul_lo_u32 v12, v8, v53
	s_delay_alu instid0(VALU_DEP_2) | instskip(NEXT) | instid1(VALU_DEP_2)
	v_mul_lo_u32 v13, v9, v56
	v_add3_u32 v10, v10, v11, v12
	v_mad_u64_u32 v[11:12], null, v9, v55, 0
	s_delay_alu instid0(VALU_DEP_2) | instskip(NEXT) | instid1(VALU_DEP_2)
	v_mul_lo_u32 v14, v10, v55
	v_mul_lo_u32 v15, v11, v50
	s_delay_alu instid0(VALU_DEP_2) | instskip(SKIP_1) | instid1(VALU_DEP_2)
	v_add3_u32 v12, v12, v13, v14
	v_mad_u64_u32 v[13:14], null, v11, v49, 0
	v_mul_lo_u32 v16, v12, v49
	s_delay_alu instid0(VALU_DEP_2) | instskip(NEXT) | instid1(VALU_DEP_2)
	v_mul_lo_u32 v17, v13, v52
	v_add3_u32 v14, v14, v15, v16
	v_mad_u64_u32 v[15:16], null, v13, v51, 0
	s_delay_alu instid0(VALU_DEP_2) | instskip(NEXT) | instid1(VALU_DEP_2)
	v_mul_lo_u32 v18, v14, v51
	v_mul_lo_u32 v19, v15, v46
	s_delay_alu instid0(VALU_DEP_2) | instskip(SKIP_1) | instid1(VALU_DEP_2)
	v_add3_u32 v16, v16, v17, v18
	v_mad_u64_u32 v[17:18], null, v15, v45, 0
	v_mul_lo_u32 v20, v16, v45
	s_delay_alu instid0(VALU_DEP_2) | instskip(NEXT) | instid1(VALU_DEP_2)
	v_mul_lo_u32 v21, v17, v48
	v_add3_u32 v18, v18, v19, v20
	v_mad_u64_u32 v[19:20], null, v17, v47, 0
	s_delay_alu instid0(VALU_DEP_2) | instskip(NEXT) | instid1(VALU_DEP_2)
	v_mul_lo_u32 v22, v18, v47
	v_mul_lo_u32 v23, v19, v42
	s_delay_alu instid0(VALU_DEP_2) | instskip(SKIP_1) | instid1(VALU_DEP_2)
	v_add3_u32 v20, v20, v21, v22
	v_mad_u64_u32 v[21:22], null, v19, v41, 0
	v_mul_lo_u32 v24, v20, v41
	s_delay_alu instid0(VALU_DEP_2) | instskip(NEXT) | instid1(VALU_DEP_2)
	v_mul_lo_u32 v25, v21, v44
	v_add3_u32 v22, v22, v23, v24
	v_mad_u64_u32 v[23:24], null, v21, v43, 0
	s_delay_alu instid0(VALU_DEP_2) | instskip(NEXT) | instid1(VALU_DEP_2)
	v_mul_lo_u32 v26, v22, v43
	v_mul_lo_u32 v27, v23, v38
	s_delay_alu instid0(VALU_DEP_2) | instskip(SKIP_1) | instid1(VALU_DEP_2)
	v_add3_u32 v24, v24, v25, v26
	v_mad_u64_u32 v[25:26], null, v23, v37, 0
	v_mul_lo_u32 v28, v24, v37
	s_delay_alu instid0(VALU_DEP_2) | instskip(NEXT) | instid1(VALU_DEP_2)
	v_mul_lo_u32 v29, v25, v40
	v_add3_u32 v26, v26, v27, v28
	v_mad_u64_u32 v[27:28], null, v25, v39, 0
	s_delay_alu instid0(VALU_DEP_2) | instskip(NEXT) | instid1(VALU_DEP_2)
	v_mul_lo_u32 v30, v26, v39
	v_mul_lo_u32 v31, v27, v34
	s_delay_alu instid0(VALU_DEP_2) | instskip(SKIP_1) | instid1(VALU_DEP_2)
	v_add3_u32 v28, v28, v29, v30
	v_mad_u64_u32 v[29:30], null, v27, v33, 0
	v_mul_lo_u32 v32, v28, v33
	s_delay_alu instid0(VALU_DEP_2) | instskip(NEXT) | instid1(VALU_DEP_2)
	v_mul_lo_u32 v33, v29, v36
	v_add3_u32 v30, v30, v31, v32
	v_mad_u64_u32 v[31:32], null, v29, v35, 0
	s_delay_alu instid0(VALU_DEP_2) | instskip(NEXT) | instid1(VALU_DEP_1)
	v_mul_lo_u32 v34, v30, v35
	v_add3_u32 v32, v32, v33, v34
	s_and_saveexec_b32 s2, vcc_lo
	s_cbranch_execz .LBB30_95
; %bb.94:
	v_dual_mov_b32 v36, 0 :: v_dual_mov_b32 v35, 2
	s_add_u32 s4, s4, 0x200
	s_addc_u32 s5, s5, 0
	s_delay_alu instid0(SALU_CYCLE_1)
	v_dual_mov_b32 v38, s5 :: v_dual_mov_b32 v37, s4
	ds_load_b64 v[33:34], v36 offset:2096
	s_waitcnt lgkmcnt(0)
	;;#ASMSTART
	global_store_dwordx4 v[37:38], v[33:36] off	
s_waitcnt vmcnt(0)
	;;#ASMEND
.LBB30_95:
	s_or_b32 exec_lo, exec_lo, s2
.LBB30_96:
	v_lshlrev_b32_e32 v33, 7, v0
	s_add_u32 s2, s6, s12
	s_addc_u32 s3, s7, s13
	s_and_b32 vcc_lo, exec_lo, s17
	s_mov_b32 s4, -1
	s_waitcnt lgkmcnt(0)
	s_barrier
	buffer_gl0_inv
	s_cbranch_vccz .LBB30_98
; %bb.97:
	v_lshl_add_u32 v34, v82, 3, v33
	v_lshrrev_b32_e32 v35, 5, v78
	v_lshrrev_b32_e32 v36, 5, v77
	v_add_lshl_u32 v37, v81, v0, 3
	v_lshrrev_b32_e32 v51, 5, v71
	ds_store_2addr_b64 v34, v[1:2], v[3:4] offset1:1
	ds_store_2addr_b64 v34, v[5:6], v[7:8] offset0:2 offset1:3
	ds_store_2addr_b64 v34, v[9:10], v[11:12] offset0:4 offset1:5
	;; [unrolled: 1-line block ×7, first 2 shown]
	v_lshrrev_b32_e32 v34, 5, v79
	v_add_lshl_u32 v39, v35, v0, 3
	v_add_lshl_u32 v40, v36, v0, 3
	s_waitcnt lgkmcnt(0)
	s_barrier
	v_add_lshl_u32 v38, v34, v0, 3
	buffer_gl0_inv
	v_lshrrev_b32_e32 v52, 5, v70
	ds_load_b64 v[34:35], v37
	ds_load_b64 v[36:37], v38 offset:2048
	ds_load_b64 v[38:39], v39 offset:4096
	;; [unrolled: 1-line block ×3, first 2 shown]
	v_lshrrev_b32_e32 v42, 5, v76
	v_lshrrev_b32_e32 v50, 5, v72
	;; [unrolled: 1-line block ×5, first 2 shown]
	v_add_lshl_u32 v53, v51, v0, 3
	v_lshrrev_b32_e32 v51, 5, v69
	v_add_lshl_u32 v54, v52, v0, 3
	v_lshrrev_b32_e32 v52, 5, v68
	v_lshrrev_b32_e32 v55, 5, v67
	;; [unrolled: 1-line block ×4, first 2 shown]
	v_add_lshl_u32 v42, v42, v0, 3
	v_add_lshl_u32 v50, v50, v0, 3
	v_add_lshl_u32 v46, v43, v0, 3
	v_add_lshl_u32 v47, v44, v0, 3
	v_add_lshl_u32 v48, v45, v0, 3
	v_add_lshl_u32 v58, v51, v0, 3
	v_add_lshl_u32 v59, v52, v0, 3
	v_add_lshl_u32 v60, v55, v0, 3
	v_add_lshl_u32 v62, v56, v0, 3
	v_add_lshl_u32 v64, v57, v0, 3
	ds_load_b64 v[42:43], v42 offset:8192
	ds_load_b64 v[44:45], v46 offset:10240
	;; [unrolled: 1-line block ×12, first 2 shown]
	v_add_co_u32 v64, s5, s2, v80
	s_delay_alu instid0(VALU_DEP_1)
	v_add_co_ci_u32_e64 v95, null, s3, 0, s5
	s_waitcnt lgkmcnt(14)
	global_store_b64 v80, v[36:37], s[2:3] offset:2048
	v_add_co_u32 v36, vcc_lo, 0x1000, v64
	v_add_co_ci_u32_e32 v37, vcc_lo, 0, v95, vcc_lo
	v_add_co_u32 v85, vcc_lo, v64, 0x2000
	v_add_co_ci_u32_e32 v86, vcc_lo, 0, v95, vcc_lo
	;; [unrolled: 2-line block ×6, first 2 shown]
	s_waitcnt lgkmcnt(13)
	global_store_b64 v[85:86], v[38:39], off offset:-4096
	s_waitcnt lgkmcnt(11)
	global_store_b64 v[85:86], v[42:43], off
	s_waitcnt lgkmcnt(9)
	global_store_b64 v[91:92], v[46:47], off offset:-4096
	s_waitcnt lgkmcnt(7)
	s_clause 0x3
	global_store_b64 v[91:92], v[50:51], off
	global_store_b64 v[36:37], v[40:41], off offset:2048
	global_store_b64 v[87:88], v[44:45], off offset:2048
	;; [unrolled: 1-line block ×3, first 2 shown]
	s_waitcnt lgkmcnt(6)
	global_store_b64 v[93:94], v[52:53], off offset:2048
	v_add_co_u32 v36, vcc_lo, v64, 0x6000
	v_add_co_ci_u32_e32 v37, vcc_lo, 0, v95, vcc_lo
	v_add_co_u32 v38, vcc_lo, 0x5000, v64
	v_add_co_ci_u32_e32 v39, vcc_lo, 0, v95, vcc_lo
	;; [unrolled: 2-line block ×4, first 2 shown]
	s_mov_b32 s4, 0
	s_waitcnt lgkmcnt(5)
	s_clause 0x1
	global_store_b64 v[36:37], v[54:55], off offset:-4096
	global_store_b64 v80, v[34:35], s[2:3]
	s_waitcnt lgkmcnt(3)
	s_clause 0x1
	global_store_b64 v[36:37], v[58:59], off
	global_store_b64 v[38:39], v[56:57], off offset:2048
	s_waitcnt lgkmcnt(2)
	global_store_b64 v[40:41], v[60:61], off offset:2048
	s_waitcnt lgkmcnt(1)
	global_store_b64 v[42:43], v[62:63], off
	s_waitcnt lgkmcnt(0)
	global_store_b64 v[42:43], v[83:84], off offset:2048
.LBB30_98:
	s_and_not1_b32 vcc_lo, exec_lo, s4
	s_cbranch_vccnz .LBB30_171
; %bb.99:
	v_lshl_add_u32 v33, v82, 3, v33
	v_add_co_u32 v34, s2, s2, v80
	s_delay_alu instid0(VALU_DEP_1)
	v_add_co_ci_u32_e64 v35, null, s3, 0, s2
	ds_store_2addr_b64 v33, v[1:2], v[3:4] offset1:1
	ds_store_2addr_b64 v33, v[5:6], v[7:8] offset0:2 offset1:3
	ds_store_2addr_b64 v33, v[9:10], v[11:12] offset0:4 offset1:5
	;; [unrolled: 1-line block ×7, first 2 shown]
	v_lshrrev_b32_e32 v1, 5, v79
	v_lshrrev_b32_e32 v2, 5, v78
	;; [unrolled: 1-line block ×3, first 2 shown]
	v_add_lshl_u32 v4, v81, v0, 3
	v_lshrrev_b32_e32 v10, 5, v76
	v_add_lshl_u32 v1, v1, v0, 3
	v_lshrrev_b32_e32 v11, 5, v75
	;; [unrolled: 2-line block ×4, first 2 shown]
	s_waitcnt lgkmcnt(0)
	s_waitcnt_vscnt null, 0x0
	s_barrier
	buffer_gl0_inv
	ds_load_b64 v[4:5], v4
	ds_load_b64 v[2:3], v1 offset:2048
	ds_load_b64 v[6:7], v6 offset:4096
	;; [unrolled: 1-line block ×3, first 2 shown]
	v_add_lshl_u32 v1, v10, v0, 3
	v_lshrrev_b32_e32 v18, 5, v72
	v_add_lshl_u32 v14, v11, v0, 3
	v_lshrrev_b32_e32 v19, 5, v71
	v_lshrrev_b32_e32 v20, 5, v70
	v_add_lshl_u32 v15, v12, v0, 3
	v_add_lshl_u32 v16, v13, v0, 3
	ds_load_b64 v[10:11], v1 offset:8192
	ds_load_b64 v[12:13], v14 offset:10240
	;; [unrolled: 1-line block ×4, first 2 shown]
	v_add_lshl_u32 v1, v18, v0, 3
	v_lshrrev_b32_e32 v18, 5, v69
	v_add_lshl_u32 v21, v19, v0, 3
	v_add_lshl_u32 v22, v20, v0, 3
	v_lshrrev_b32_e32 v19, 5, v68
	v_lshrrev_b32_e32 v20, 5, v67
	;; [unrolled: 1-line block ×4, first 2 shown]
	v_add_lshl_u32 v25, v18, v0, 3
	v_add_lshl_u32 v26, v19, v0, 3
	;; [unrolled: 1-line block ×5, first 2 shown]
	ds_load_b64 v[18:19], v1 offset:16384
	ds_load_b64 v[20:21], v21 offset:18432
	;; [unrolled: 1-line block ×8, first 2 shown]
	v_mov_b32_e32 v1, 0
	s_mov_b32 s2, exec_lo
	v_cmpx_gt_u32_e64 s14, v0
	s_cbranch_execnz .LBB30_187
; %bb.100:
	s_or_b32 exec_lo, exec_lo, s2
	s_delay_alu instid0(SALU_CYCLE_1)
	s_mov_b32 s2, exec_lo
	v_cmpx_gt_u32_e64 s14, v79
	s_cbranch_execnz .LBB30_188
.LBB30_101:
	s_or_b32 exec_lo, exec_lo, s2
	s_delay_alu instid0(SALU_CYCLE_1)
	s_mov_b32 s2, exec_lo
	v_cmpx_gt_u32_e64 s14, v78
	s_cbranch_execnz .LBB30_189
.LBB30_102:
	s_or_b32 exec_lo, exec_lo, s2
	s_delay_alu instid0(SALU_CYCLE_1)
	s_mov_b32 s2, exec_lo
	v_cmpx_gt_u32_e64 s14, v77
	s_cbranch_execnz .LBB30_190
.LBB30_103:
	s_or_b32 exec_lo, exec_lo, s2
	s_delay_alu instid0(SALU_CYCLE_1)
	s_mov_b32 s2, exec_lo
	v_cmpx_gt_u32_e64 s14, v76
	s_cbranch_execnz .LBB30_191
.LBB30_104:
	s_or_b32 exec_lo, exec_lo, s2
	s_delay_alu instid0(SALU_CYCLE_1)
	s_mov_b32 s2, exec_lo
	v_cmpx_gt_u32_e64 s14, v75
	s_cbranch_execnz .LBB30_192
.LBB30_105:
	s_or_b32 exec_lo, exec_lo, s2
	s_delay_alu instid0(SALU_CYCLE_1)
	s_mov_b32 s2, exec_lo
	v_cmpx_gt_u32_e64 s14, v74
	s_cbranch_execnz .LBB30_193
.LBB30_106:
	s_or_b32 exec_lo, exec_lo, s2
	s_delay_alu instid0(SALU_CYCLE_1)
	s_mov_b32 s2, exec_lo
	v_cmpx_gt_u32_e64 s14, v73
	s_cbranch_execnz .LBB30_194
.LBB30_107:
	s_or_b32 exec_lo, exec_lo, s2
	s_delay_alu instid0(SALU_CYCLE_1)
	s_mov_b32 s2, exec_lo
	v_cmpx_gt_u32_e64 s14, v72
	s_cbranch_execnz .LBB30_195
.LBB30_108:
	s_or_b32 exec_lo, exec_lo, s2
	s_delay_alu instid0(SALU_CYCLE_1)
	s_mov_b32 s2, exec_lo
	v_cmpx_gt_u32_e64 s14, v71
	s_cbranch_execnz .LBB30_196
.LBB30_109:
	s_or_b32 exec_lo, exec_lo, s2
	s_delay_alu instid0(SALU_CYCLE_1)
	s_mov_b32 s2, exec_lo
	v_cmpx_gt_u32_e64 s14, v70
	s_cbranch_execnz .LBB30_197
.LBB30_110:
	s_or_b32 exec_lo, exec_lo, s2
	s_delay_alu instid0(SALU_CYCLE_1)
	s_mov_b32 s2, exec_lo
	v_cmpx_gt_u32_e64 s14, v69
	s_cbranch_execnz .LBB30_198
.LBB30_111:
	s_or_b32 exec_lo, exec_lo, s2
	s_delay_alu instid0(SALU_CYCLE_1)
	s_mov_b32 s2, exec_lo
	v_cmpx_gt_u32_e64 s14, v68
	s_cbranch_execnz .LBB30_199
.LBB30_112:
	s_or_b32 exec_lo, exec_lo, s2
	s_delay_alu instid0(SALU_CYCLE_1)
	s_mov_b32 s2, exec_lo
	v_cmpx_gt_u32_e64 s14, v67
	s_cbranch_execnz .LBB30_200
.LBB30_113:
	s_or_b32 exec_lo, exec_lo, s2
	s_delay_alu instid0(SALU_CYCLE_1)
	s_mov_b32 s2, exec_lo
	v_cmpx_gt_u32_e64 s14, v66
	s_cbranch_execnz .LBB30_201
.LBB30_114:
	s_or_b32 exec_lo, exec_lo, s2
	s_delay_alu instid0(SALU_CYCLE_1)
	s_mov_b32 s2, exec_lo
	v_cmpx_gt_u32_e64 s14, v65
	s_cbranch_execz .LBB30_116
.LBB30_115:
	v_add_co_u32 v34, vcc_lo, 0x7000, v34
	v_add_co_ci_u32_e32 v35, vcc_lo, 0, v35, vcc_lo
	s_waitcnt lgkmcnt(0)
	global_store_b64 v[34:35], v[32:33], off offset:2048
.LBB30_116:
	s_or_b32 exec_lo, exec_lo, s2
	s_load_b32 s0, s[0:1], 0x48
	s_waitcnt lgkmcnt(0)
	s_bfe_u32 s0, s0, 0x10008
	s_delay_alu instid0(SALU_CYCLE_1)
	s_cmp_eq_u32 s0, 0
	s_cbranch_scc1 .LBB30_171
; %bb.117:
	s_add_u32 s0, s14, -1
	s_addc_u32 s1, s16, -1
	s_delay_alu instid0(SALU_CYCLE_1)
	s_lshr_b64 s[2:3], s[0:1], 4
	s_mov_b32 s1, exec_lo
	v_cmpx_eq_u64_e64 s[2:3], v[0:1]
	s_cbranch_execz .LBB30_171
; %bb.118:
	s_and_b32 s0, s0, 15
	s_mov_b32 s1, 0
	s_delay_alu instid0(SALU_CYCLE_1) | instskip(NEXT) | instid1(VALU_DEP_1)
	v_cmp_lt_i64_e64 s2, s[0:1], 8
	s_and_b32 vcc_lo, exec_lo, s2
	s_mov_b32 s2, -1
	s_cbranch_vccnz .LBB30_145
; %bb.119:
	v_cmp_lt_i64_e64 s2, s[0:1], 12
	s_delay_alu instid0(VALU_DEP_1)
	s_and_b32 vcc_lo, exec_lo, s2
	s_mov_b32 s2, -1
	s_cbranch_vccnz .LBB30_132
; %bb.120:
	v_cmp_lt_i64_e64 s2, s[0:1], 14
	s_delay_alu instid0(VALU_DEP_1)
	s_and_b32 vcc_lo, exec_lo, s2
	s_mov_b32 s2, -1
	s_cbranch_vccnz .LBB30_126
; %bb.121:
	v_cmp_gt_i64_e64 s2, s[0:1], 14
	s_delay_alu instid0(VALU_DEP_1)
	s_and_b32 vcc_lo, exec_lo, s2
	s_mov_b32 s2, -1
	s_cbranch_vccz .LBB30_123
; %bb.122:
	v_mov_b32_e32 v0, 0
	s_mov_b32 s2, 0
	global_store_b64 v0, v[32:33], s[10:11]
.LBB30_123:
	s_and_not1_b32 vcc_lo, exec_lo, s2
	s_cbranch_vccnz .LBB30_125
; %bb.124:
	v_mov_b32_e32 v0, 0
	global_store_b64 v0, v[30:31], s[10:11]
.LBB30_125:
	s_mov_b32 s2, 0
.LBB30_126:
	s_delay_alu instid0(SALU_CYCLE_1)
	s_and_not1_b32 vcc_lo, exec_lo, s2
	s_cbranch_vccnz .LBB30_131
; %bb.127:
	v_cmp_gt_i64_e64 s2, s[0:1], 12
	s_delay_alu instid0(VALU_DEP_1)
	s_and_b32 vcc_lo, exec_lo, s2
	s_mov_b32 s2, -1
	s_cbranch_vccz .LBB30_129
; %bb.128:
	v_mov_b32_e32 v0, 0
	s_mov_b32 s2, 0
	global_store_b64 v0, v[28:29], s[10:11]
.LBB30_129:
	s_and_not1_b32 vcc_lo, exec_lo, s2
	s_cbranch_vccnz .LBB30_131
; %bb.130:
	v_mov_b32_e32 v0, 0
	global_store_b64 v0, v[26:27], s[10:11]
.LBB30_131:
	s_mov_b32 s2, 0
.LBB30_132:
	s_delay_alu instid0(SALU_CYCLE_1)
	s_and_not1_b32 vcc_lo, exec_lo, s2
	s_cbranch_vccnz .LBB30_144
; %bb.133:
	v_cmp_lt_i64_e64 s2, s[0:1], 10
	s_delay_alu instid0(VALU_DEP_1)
	s_and_b32 vcc_lo, exec_lo, s2
	s_mov_b32 s2, -1
	s_cbranch_vccnz .LBB30_139
; %bb.134:
	v_cmp_gt_i64_e64 s2, s[0:1], 10
	s_delay_alu instid0(VALU_DEP_1)
	s_and_b32 vcc_lo, exec_lo, s2
	s_mov_b32 s2, -1
	s_cbranch_vccz .LBB30_136
; %bb.135:
	v_mov_b32_e32 v0, 0
	s_mov_b32 s2, 0
	global_store_b64 v0, v[24:25], s[10:11]
.LBB30_136:
	s_and_not1_b32 vcc_lo, exec_lo, s2
	s_cbranch_vccnz .LBB30_138
; %bb.137:
	v_mov_b32_e32 v0, 0
	global_store_b64 v0, v[22:23], s[10:11]
.LBB30_138:
	s_mov_b32 s2, 0
.LBB30_139:
	s_delay_alu instid0(SALU_CYCLE_1)
	s_and_not1_b32 vcc_lo, exec_lo, s2
	s_cbranch_vccnz .LBB30_144
; %bb.140:
	v_cmp_gt_i64_e64 s2, s[0:1], 8
	s_delay_alu instid0(VALU_DEP_1)
	s_and_b32 vcc_lo, exec_lo, s2
	s_mov_b32 s2, -1
	s_cbranch_vccz .LBB30_142
; %bb.141:
	v_mov_b32_e32 v0, 0
	s_mov_b32 s2, 0
	global_store_b64 v0, v[20:21], s[10:11]
.LBB30_142:
	s_and_not1_b32 vcc_lo, exec_lo, s2
	s_cbranch_vccnz .LBB30_144
; %bb.143:
	v_mov_b32_e32 v0, 0
	global_store_b64 v0, v[18:19], s[10:11]
.LBB30_144:
	s_mov_b32 s2, 0
.LBB30_145:
	s_delay_alu instid0(SALU_CYCLE_1)
	s_and_not1_b32 vcc_lo, exec_lo, s2
	s_cbranch_vccnz .LBB30_171
; %bb.146:
	v_cmp_lt_i64_e64 s2, s[0:1], 4
	s_delay_alu instid0(VALU_DEP_1)
	s_and_b32 vcc_lo, exec_lo, s2
	s_mov_b32 s2, -1
	s_cbranch_vccnz .LBB30_159
; %bb.147:
	v_cmp_lt_i64_e64 s2, s[0:1], 6
	s_delay_alu instid0(VALU_DEP_1)
	s_and_b32 vcc_lo, exec_lo, s2
	s_mov_b32 s2, -1
	s_cbranch_vccnz .LBB30_153
; %bb.148:
	v_cmp_gt_i64_e64 s2, s[0:1], 6
	s_delay_alu instid0(VALU_DEP_1)
	s_and_b32 vcc_lo, exec_lo, s2
	s_mov_b32 s2, -1
	s_cbranch_vccz .LBB30_150
; %bb.149:
	v_mov_b32_e32 v0, 0
	s_mov_b32 s2, 0
	global_store_b64 v0, v[16:17], s[10:11]
.LBB30_150:
	s_and_not1_b32 vcc_lo, exec_lo, s2
	s_cbranch_vccnz .LBB30_152
; %bb.151:
	v_mov_b32_e32 v0, 0
	global_store_b64 v0, v[14:15], s[10:11]
.LBB30_152:
	s_mov_b32 s2, 0
.LBB30_153:
	s_delay_alu instid0(SALU_CYCLE_1)
	s_and_not1_b32 vcc_lo, exec_lo, s2
	s_cbranch_vccnz .LBB30_158
; %bb.154:
	v_cmp_gt_i64_e64 s2, s[0:1], 4
	s_delay_alu instid0(VALU_DEP_1)
	s_and_b32 vcc_lo, exec_lo, s2
	s_mov_b32 s2, -1
	s_cbranch_vccz .LBB30_156
; %bb.155:
	v_mov_b32_e32 v0, 0
	s_mov_b32 s2, 0
	global_store_b64 v0, v[12:13], s[10:11]
.LBB30_156:
	s_and_not1_b32 vcc_lo, exec_lo, s2
	s_cbranch_vccnz .LBB30_158
; %bb.157:
	v_mov_b32_e32 v0, 0
	global_store_b64 v0, v[10:11], s[10:11]
.LBB30_158:
	s_mov_b32 s2, 0
.LBB30_159:
	s_delay_alu instid0(SALU_CYCLE_1)
	s_and_not1_b32 vcc_lo, exec_lo, s2
	s_cbranch_vccnz .LBB30_171
; %bb.160:
	v_cmp_lt_i64_e64 s2, s[0:1], 2
	s_delay_alu instid0(VALU_DEP_1)
	s_and_b32 vcc_lo, exec_lo, s2
	s_mov_b32 s2, -1
	s_cbranch_vccnz .LBB30_166
; %bb.161:
	v_cmp_gt_i64_e64 s2, s[0:1], 2
	s_delay_alu instid0(VALU_DEP_1)
	s_and_b32 vcc_lo, exec_lo, s2
	s_mov_b32 s2, -1
	s_cbranch_vccz .LBB30_163
; %bb.162:
	v_mov_b32_e32 v0, 0
	s_mov_b32 s2, 0
	global_store_b64 v0, v[8:9], s[10:11]
.LBB30_163:
	s_and_not1_b32 vcc_lo, exec_lo, s2
	s_cbranch_vccnz .LBB30_165
; %bb.164:
	v_mov_b32_e32 v0, 0
	global_store_b64 v0, v[6:7], s[10:11]
.LBB30_165:
	s_mov_b32 s2, 0
.LBB30_166:
	s_delay_alu instid0(SALU_CYCLE_1)
	s_and_not1_b32 vcc_lo, exec_lo, s2
	s_cbranch_vccnz .LBB30_171
; %bb.167:
	s_cmp_eq_u64 s[0:1], 1
	s_mov_b32 s0, -1
	s_cbranch_scc1 .LBB30_169
; %bb.168:
	v_mov_b32_e32 v0, 0
	s_mov_b32 s0, 0
	global_store_b64 v0, v[4:5], s[10:11]
.LBB30_169:
	s_and_not1_b32 vcc_lo, exec_lo, s0
	s_cbranch_vccnz .LBB30_171
; %bb.170:
	v_mov_b32_e32 v0, 0
	global_store_b64 v0, v[2:3], s[10:11]
.LBB30_171:
	s_nop 0
	s_sendmsg sendmsg(MSG_DEALLOC_VGPRS)
	s_endpgm
.LBB30_172:
	global_load_b64 v[33:34], v[35:36], off
	v_dual_mov_b32 v1, s36 :: v_dual_mov_b32 v2, s37
	v_dual_mov_b32 v3, s38 :: v_dual_mov_b32 v4, s39
	;; [unrolled: 1-line block ×16, first 2 shown]
	s_or_b32 exec_lo, exec_lo, s3
	s_delay_alu instid0(SALU_CYCLE_1)
	s_mov_b32 s2, exec_lo
	v_cmpx_gt_u32_e64 s14, v79
	s_cbranch_execz .LBB30_5
.LBB30_173:
	global_load_b64 v[3:4], v[35:36], off offset:2048
	s_or_b32 exec_lo, exec_lo, s2
	s_delay_alu instid0(SALU_CYCLE_1)
	s_mov_b32 s2, exec_lo
	v_cmpx_gt_u32_e64 s14, v78
	s_cbranch_execz .LBB30_6
.LBB30_174:
	v_add_co_u32 v1, vcc_lo, 0x1000, v35
	v_add_co_ci_u32_e32 v2, vcc_lo, 0, v36, vcc_lo
	global_load_b64 v[5:6], v[1:2], off
	s_or_b32 exec_lo, exec_lo, s2
	s_delay_alu instid0(SALU_CYCLE_1)
	s_mov_b32 s2, exec_lo
	v_cmpx_gt_u32_e64 s14, v77
	s_cbranch_execz .LBB30_7
.LBB30_175:
	v_add_co_u32 v1, vcc_lo, 0x1000, v35
	v_add_co_ci_u32_e32 v2, vcc_lo, 0, v36, vcc_lo
	global_load_b64 v[7:8], v[1:2], off offset:2048
	s_or_b32 exec_lo, exec_lo, s2
	s_delay_alu instid0(SALU_CYCLE_1)
	s_mov_b32 s2, exec_lo
	v_cmpx_gt_u32_e64 s14, v76
	s_cbranch_execz .LBB30_8
.LBB30_176:
	v_add_co_u32 v1, vcc_lo, 0x2000, v35
	v_add_co_ci_u32_e32 v2, vcc_lo, 0, v36, vcc_lo
	global_load_b64 v[9:10], v[1:2], off
	s_or_b32 exec_lo, exec_lo, s2
	s_delay_alu instid0(SALU_CYCLE_1)
	s_mov_b32 s2, exec_lo
	v_cmpx_gt_u32_e64 s14, v75
	s_cbranch_execz .LBB30_9
.LBB30_177:
	v_add_co_u32 v1, vcc_lo, 0x2000, v35
	v_add_co_ci_u32_e32 v2, vcc_lo, 0, v36, vcc_lo
	global_load_b64 v[11:12], v[1:2], off offset:2048
	s_or_b32 exec_lo, exec_lo, s2
	s_delay_alu instid0(SALU_CYCLE_1)
	s_mov_b32 s2, exec_lo
	v_cmpx_gt_u32_e64 s14, v74
	s_cbranch_execz .LBB30_10
.LBB30_178:
	v_add_co_u32 v1, vcc_lo, 0x3000, v35
	v_add_co_ci_u32_e32 v2, vcc_lo, 0, v36, vcc_lo
	global_load_b64 v[13:14], v[1:2], off
	s_or_b32 exec_lo, exec_lo, s2
	s_delay_alu instid0(SALU_CYCLE_1)
	s_mov_b32 s2, exec_lo
	v_cmpx_gt_u32_e64 s14, v73
	s_cbranch_execz .LBB30_11
.LBB30_179:
	v_add_co_u32 v1, vcc_lo, 0x3000, v35
	v_add_co_ci_u32_e32 v2, vcc_lo, 0, v36, vcc_lo
	global_load_b64 v[15:16], v[1:2], off offset:2048
	s_or_b32 exec_lo, exec_lo, s2
	s_delay_alu instid0(SALU_CYCLE_1)
	s_mov_b32 s2, exec_lo
	v_cmpx_gt_u32_e64 s14, v72
	s_cbranch_execz .LBB30_12
.LBB30_180:
	v_add_co_u32 v1, vcc_lo, 0x4000, v35
	v_add_co_ci_u32_e32 v2, vcc_lo, 0, v36, vcc_lo
	global_load_b64 v[17:18], v[1:2], off
	s_or_b32 exec_lo, exec_lo, s2
	s_delay_alu instid0(SALU_CYCLE_1)
	s_mov_b32 s2, exec_lo
	v_cmpx_gt_u32_e64 s14, v71
	s_cbranch_execz .LBB30_13
.LBB30_181:
	v_add_co_u32 v1, vcc_lo, 0x4000, v35
	v_add_co_ci_u32_e32 v2, vcc_lo, 0, v36, vcc_lo
	global_load_b64 v[19:20], v[1:2], off offset:2048
	s_or_b32 exec_lo, exec_lo, s2
	s_delay_alu instid0(SALU_CYCLE_1)
	s_mov_b32 s2, exec_lo
	v_cmpx_gt_u32_e64 s14, v70
	s_cbranch_execz .LBB30_14
.LBB30_182:
	v_add_co_u32 v1, vcc_lo, 0x5000, v35
	v_add_co_ci_u32_e32 v2, vcc_lo, 0, v36, vcc_lo
	global_load_b64 v[21:22], v[1:2], off
	s_or_b32 exec_lo, exec_lo, s2
	s_delay_alu instid0(SALU_CYCLE_1)
	s_mov_b32 s2, exec_lo
	v_cmpx_gt_u32_e64 s14, v69
	s_cbranch_execz .LBB30_15
.LBB30_183:
	v_add_co_u32 v1, vcc_lo, 0x5000, v35
	v_add_co_ci_u32_e32 v2, vcc_lo, 0, v36, vcc_lo
	global_load_b64 v[23:24], v[1:2], off offset:2048
	s_or_b32 exec_lo, exec_lo, s2
	s_delay_alu instid0(SALU_CYCLE_1)
	s_mov_b32 s2, exec_lo
	v_cmpx_gt_u32_e64 s14, v68
	s_cbranch_execz .LBB30_16
.LBB30_184:
	v_add_co_u32 v1, vcc_lo, 0x6000, v35
	v_add_co_ci_u32_e32 v2, vcc_lo, 0, v36, vcc_lo
	global_load_b64 v[25:26], v[1:2], off
	s_or_b32 exec_lo, exec_lo, s2
	s_delay_alu instid0(SALU_CYCLE_1)
	s_mov_b32 s2, exec_lo
	v_cmpx_gt_u32_e64 s14, v67
	s_cbranch_execz .LBB30_17
.LBB30_185:
	v_add_co_u32 v1, vcc_lo, 0x6000, v35
	v_add_co_ci_u32_e32 v2, vcc_lo, 0, v36, vcc_lo
	global_load_b64 v[27:28], v[1:2], off offset:2048
	s_or_b32 exec_lo, exec_lo, s2
	s_delay_alu instid0(SALU_CYCLE_1)
	s_mov_b32 s2, exec_lo
	v_cmpx_gt_u32_e64 s14, v66
	s_cbranch_execz .LBB30_18
.LBB30_186:
	v_add_co_u32 v1, vcc_lo, 0x7000, v35
	v_add_co_ci_u32_e32 v2, vcc_lo, 0, v36, vcc_lo
	global_load_b64 v[29:30], v[1:2], off
	s_or_b32 exec_lo, exec_lo, s2
	s_delay_alu instid0(SALU_CYCLE_1)
	s_mov_b32 s2, exec_lo
	v_cmpx_gt_u32_e64 s14, v65
	s_cbranch_execnz .LBB30_19
	s_branch .LBB30_20
.LBB30_187:
	s_waitcnt lgkmcnt(15)
	global_store_b64 v[34:35], v[4:5], off
	s_or_b32 exec_lo, exec_lo, s2
	s_delay_alu instid0(SALU_CYCLE_1)
	s_mov_b32 s2, exec_lo
	v_cmpx_gt_u32_e64 s14, v79
	s_cbranch_execz .LBB30_101
.LBB30_188:
	s_waitcnt lgkmcnt(14)
	global_store_b64 v[34:35], v[2:3], off offset:2048
	s_or_b32 exec_lo, exec_lo, s2
	s_delay_alu instid0(SALU_CYCLE_1)
	s_mov_b32 s2, exec_lo
	v_cmpx_gt_u32_e64 s14, v78
	s_cbranch_execz .LBB30_102
.LBB30_189:
	v_add_co_u32 v36, vcc_lo, 0x1000, v34
	v_add_co_ci_u32_e32 v37, vcc_lo, 0, v35, vcc_lo
	s_waitcnt lgkmcnt(13)
	global_store_b64 v[36:37], v[6:7], off
	s_or_b32 exec_lo, exec_lo, s2
	s_delay_alu instid0(SALU_CYCLE_1)
	s_mov_b32 s2, exec_lo
	v_cmpx_gt_u32_e64 s14, v77
	s_cbranch_execz .LBB30_103
.LBB30_190:
	v_add_co_u32 v36, vcc_lo, 0x1000, v34
	v_add_co_ci_u32_e32 v37, vcc_lo, 0, v35, vcc_lo
	s_waitcnt lgkmcnt(12)
	global_store_b64 v[36:37], v[8:9], off offset:2048
	s_or_b32 exec_lo, exec_lo, s2
	s_delay_alu instid0(SALU_CYCLE_1)
	s_mov_b32 s2, exec_lo
	v_cmpx_gt_u32_e64 s14, v76
	s_cbranch_execz .LBB30_104
.LBB30_191:
	v_add_co_u32 v36, vcc_lo, 0x2000, v34
	v_add_co_ci_u32_e32 v37, vcc_lo, 0, v35, vcc_lo
	s_waitcnt lgkmcnt(11)
	global_store_b64 v[36:37], v[10:11], off
	s_or_b32 exec_lo, exec_lo, s2
	s_delay_alu instid0(SALU_CYCLE_1)
	s_mov_b32 s2, exec_lo
	v_cmpx_gt_u32_e64 s14, v75
	s_cbranch_execz .LBB30_105
.LBB30_192:
	v_add_co_u32 v36, vcc_lo, 0x2000, v34
	v_add_co_ci_u32_e32 v37, vcc_lo, 0, v35, vcc_lo
	s_waitcnt lgkmcnt(10)
	global_store_b64 v[36:37], v[12:13], off offset:2048
	s_or_b32 exec_lo, exec_lo, s2
	s_delay_alu instid0(SALU_CYCLE_1)
	s_mov_b32 s2, exec_lo
	v_cmpx_gt_u32_e64 s14, v74
	s_cbranch_execz .LBB30_106
.LBB30_193:
	v_add_co_u32 v36, vcc_lo, 0x3000, v34
	v_add_co_ci_u32_e32 v37, vcc_lo, 0, v35, vcc_lo
	s_waitcnt lgkmcnt(9)
	global_store_b64 v[36:37], v[14:15], off
	s_or_b32 exec_lo, exec_lo, s2
	s_delay_alu instid0(SALU_CYCLE_1)
	s_mov_b32 s2, exec_lo
	v_cmpx_gt_u32_e64 s14, v73
	s_cbranch_execz .LBB30_107
.LBB30_194:
	v_add_co_u32 v36, vcc_lo, 0x3000, v34
	v_add_co_ci_u32_e32 v37, vcc_lo, 0, v35, vcc_lo
	s_waitcnt lgkmcnt(8)
	global_store_b64 v[36:37], v[16:17], off offset:2048
	s_or_b32 exec_lo, exec_lo, s2
	s_delay_alu instid0(SALU_CYCLE_1)
	s_mov_b32 s2, exec_lo
	v_cmpx_gt_u32_e64 s14, v72
	s_cbranch_execz .LBB30_108
.LBB30_195:
	v_add_co_u32 v36, vcc_lo, 0x4000, v34
	v_add_co_ci_u32_e32 v37, vcc_lo, 0, v35, vcc_lo
	s_waitcnt lgkmcnt(7)
	global_store_b64 v[36:37], v[18:19], off
	s_or_b32 exec_lo, exec_lo, s2
	s_delay_alu instid0(SALU_CYCLE_1)
	s_mov_b32 s2, exec_lo
	v_cmpx_gt_u32_e64 s14, v71
	s_cbranch_execz .LBB30_109
.LBB30_196:
	v_add_co_u32 v36, vcc_lo, 0x4000, v34
	v_add_co_ci_u32_e32 v37, vcc_lo, 0, v35, vcc_lo
	s_waitcnt lgkmcnt(6)
	global_store_b64 v[36:37], v[20:21], off offset:2048
	s_or_b32 exec_lo, exec_lo, s2
	s_delay_alu instid0(SALU_CYCLE_1)
	s_mov_b32 s2, exec_lo
	v_cmpx_gt_u32_e64 s14, v70
	s_cbranch_execz .LBB30_110
.LBB30_197:
	v_add_co_u32 v36, vcc_lo, 0x5000, v34
	v_add_co_ci_u32_e32 v37, vcc_lo, 0, v35, vcc_lo
	s_waitcnt lgkmcnt(5)
	global_store_b64 v[36:37], v[22:23], off
	s_or_b32 exec_lo, exec_lo, s2
	s_delay_alu instid0(SALU_CYCLE_1)
	s_mov_b32 s2, exec_lo
	v_cmpx_gt_u32_e64 s14, v69
	s_cbranch_execz .LBB30_111
.LBB30_198:
	v_add_co_u32 v36, vcc_lo, 0x5000, v34
	v_add_co_ci_u32_e32 v37, vcc_lo, 0, v35, vcc_lo
	s_waitcnt lgkmcnt(4)
	global_store_b64 v[36:37], v[24:25], off offset:2048
	s_or_b32 exec_lo, exec_lo, s2
	s_delay_alu instid0(SALU_CYCLE_1)
	s_mov_b32 s2, exec_lo
	v_cmpx_gt_u32_e64 s14, v68
	s_cbranch_execz .LBB30_112
.LBB30_199:
	v_add_co_u32 v36, vcc_lo, 0x6000, v34
	v_add_co_ci_u32_e32 v37, vcc_lo, 0, v35, vcc_lo
	s_waitcnt lgkmcnt(3)
	global_store_b64 v[36:37], v[26:27], off
	s_or_b32 exec_lo, exec_lo, s2
	s_delay_alu instid0(SALU_CYCLE_1)
	s_mov_b32 s2, exec_lo
	v_cmpx_gt_u32_e64 s14, v67
	s_cbranch_execz .LBB30_113
.LBB30_200:
	v_add_co_u32 v36, vcc_lo, 0x6000, v34
	v_add_co_ci_u32_e32 v37, vcc_lo, 0, v35, vcc_lo
	s_waitcnt lgkmcnt(2)
	global_store_b64 v[36:37], v[28:29], off offset:2048
	s_or_b32 exec_lo, exec_lo, s2
	s_delay_alu instid0(SALU_CYCLE_1)
	s_mov_b32 s2, exec_lo
	v_cmpx_gt_u32_e64 s14, v66
	s_cbranch_execz .LBB30_114
.LBB30_201:
	v_add_co_u32 v36, vcc_lo, 0x7000, v34
	v_add_co_ci_u32_e32 v37, vcc_lo, 0, v35, vcc_lo
	s_waitcnt lgkmcnt(1)
	global_store_b64 v[36:37], v[30:31], off
	s_or_b32 exec_lo, exec_lo, s2
	s_delay_alu instid0(SALU_CYCLE_1)
	s_mov_b32 s2, exec_lo
	v_cmpx_gt_u32_e64 s14, v65
	s_cbranch_execnz .LBB30_115
	s_branch .LBB30_116
	.section	.rodata,"a",@progbits
	.p2align	6, 0x0
	.amdhsa_kernel _ZN7rocprim17ROCPRIM_304000_NS6detail20lookback_scan_kernelILNS1_25lookback_scan_determinismE0ELb0ENS1_19wrapped_scan_configINS0_14default_configElEEPKlPlSt10multipliesIlEllNS1_19lookback_scan_stateIlLb0ELb1EEEEEvT2_T3_mT5_T4_T7_jPT6_SK_bb
		.amdhsa_group_segment_fixed_size 33792
		.amdhsa_private_segment_fixed_size 0
		.amdhsa_kernarg_size 76
		.amdhsa_user_sgpr_count 15
		.amdhsa_user_sgpr_dispatch_ptr 0
		.amdhsa_user_sgpr_queue_ptr 0
		.amdhsa_user_sgpr_kernarg_segment_ptr 1
		.amdhsa_user_sgpr_dispatch_id 0
		.amdhsa_user_sgpr_private_segment_size 0
		.amdhsa_wavefront_size32 1
		.amdhsa_uses_dynamic_stack 0
		.amdhsa_enable_private_segment 0
		.amdhsa_system_sgpr_workgroup_id_x 1
		.amdhsa_system_sgpr_workgroup_id_y 0
		.amdhsa_system_sgpr_workgroup_id_z 0
		.amdhsa_system_sgpr_workgroup_info 0
		.amdhsa_system_vgpr_workitem_id 0
		.amdhsa_next_free_vgpr 96
		.amdhsa_next_free_sgpr 68
		.amdhsa_reserve_vcc 1
		.amdhsa_float_round_mode_32 0
		.amdhsa_float_round_mode_16_64 0
		.amdhsa_float_denorm_mode_32 3
		.amdhsa_float_denorm_mode_16_64 3
		.amdhsa_dx10_clamp 1
		.amdhsa_ieee_mode 1
		.amdhsa_fp16_overflow 0
		.amdhsa_workgroup_processor_mode 1
		.amdhsa_memory_ordered 1
		.amdhsa_forward_progress 0
		.amdhsa_shared_vgpr_count 0
		.amdhsa_exception_fp_ieee_invalid_op 0
		.amdhsa_exception_fp_denorm_src 0
		.amdhsa_exception_fp_ieee_div_zero 0
		.amdhsa_exception_fp_ieee_overflow 0
		.amdhsa_exception_fp_ieee_underflow 0
		.amdhsa_exception_fp_ieee_inexact 0
		.amdhsa_exception_int_div_zero 0
	.end_amdhsa_kernel
	.section	.text._ZN7rocprim17ROCPRIM_304000_NS6detail20lookback_scan_kernelILNS1_25lookback_scan_determinismE0ELb0ENS1_19wrapped_scan_configINS0_14default_configElEEPKlPlSt10multipliesIlEllNS1_19lookback_scan_stateIlLb0ELb1EEEEEvT2_T3_mT5_T4_T7_jPT6_SK_bb,"axG",@progbits,_ZN7rocprim17ROCPRIM_304000_NS6detail20lookback_scan_kernelILNS1_25lookback_scan_determinismE0ELb0ENS1_19wrapped_scan_configINS0_14default_configElEEPKlPlSt10multipliesIlEllNS1_19lookback_scan_stateIlLb0ELb1EEEEEvT2_T3_mT5_T4_T7_jPT6_SK_bb,comdat
.Lfunc_end30:
	.size	_ZN7rocprim17ROCPRIM_304000_NS6detail20lookback_scan_kernelILNS1_25lookback_scan_determinismE0ELb0ENS1_19wrapped_scan_configINS0_14default_configElEEPKlPlSt10multipliesIlEllNS1_19lookback_scan_stateIlLb0ELb1EEEEEvT2_T3_mT5_T4_T7_jPT6_SK_bb, .Lfunc_end30-_ZN7rocprim17ROCPRIM_304000_NS6detail20lookback_scan_kernelILNS1_25lookback_scan_determinismE0ELb0ENS1_19wrapped_scan_configINS0_14default_configElEEPKlPlSt10multipliesIlEllNS1_19lookback_scan_stateIlLb0ELb1EEEEEvT2_T3_mT5_T4_T7_jPT6_SK_bb
                                        ; -- End function
	.section	.AMDGPU.csdata,"",@progbits
; Kernel info:
; codeLenInByte = 13360
; NumSgprs: 70
; NumVgprs: 96
; ScratchSize: 0
; MemoryBound: 1
; FloatMode: 240
; IeeeMode: 1
; LDSByteSize: 33792 bytes/workgroup (compile time only)
; SGPRBlocks: 8
; VGPRBlocks: 11
; NumSGPRsForWavesPerEU: 70
; NumVGPRsForWavesPerEU: 96
; Occupancy: 6
; WaveLimiterHint : 1
; COMPUTE_PGM_RSRC2:SCRATCH_EN: 0
; COMPUTE_PGM_RSRC2:USER_SGPR: 15
; COMPUTE_PGM_RSRC2:TRAP_HANDLER: 0
; COMPUTE_PGM_RSRC2:TGID_X_EN: 1
; COMPUTE_PGM_RSRC2:TGID_Y_EN: 0
; COMPUTE_PGM_RSRC2:TGID_Z_EN: 0
; COMPUTE_PGM_RSRC2:TIDIG_COMP_CNT: 0
	.section	.text._ZN7rocprim17ROCPRIM_304000_NS6detail16transform_kernelINS1_24wrapped_transform_configINS0_14default_configElEElPlS6_NS0_8identityIlEEEEvT1_mT2_T3_,"axG",@progbits,_ZN7rocprim17ROCPRIM_304000_NS6detail16transform_kernelINS1_24wrapped_transform_configINS0_14default_configElEElPlS6_NS0_8identityIlEEEEvT1_mT2_T3_,comdat
	.protected	_ZN7rocprim17ROCPRIM_304000_NS6detail16transform_kernelINS1_24wrapped_transform_configINS0_14default_configElEElPlS6_NS0_8identityIlEEEEvT1_mT2_T3_ ; -- Begin function _ZN7rocprim17ROCPRIM_304000_NS6detail16transform_kernelINS1_24wrapped_transform_configINS0_14default_configElEElPlS6_NS0_8identityIlEEEEvT1_mT2_T3_
	.globl	_ZN7rocprim17ROCPRIM_304000_NS6detail16transform_kernelINS1_24wrapped_transform_configINS0_14default_configElEElPlS6_NS0_8identityIlEEEEvT1_mT2_T3_
	.p2align	8
	.type	_ZN7rocprim17ROCPRIM_304000_NS6detail16transform_kernelINS1_24wrapped_transform_configINS0_14default_configElEElPlS6_NS0_8identityIlEEEEvT1_mT2_T3_,@function
_ZN7rocprim17ROCPRIM_304000_NS6detail16transform_kernelINS1_24wrapped_transform_configINS0_14default_configElEElPlS6_NS0_8identityIlEEEEvT1_mT2_T3_: ; @_ZN7rocprim17ROCPRIM_304000_NS6detail16transform_kernelINS1_24wrapped_transform_configINS0_14default_configElEElPlS6_NS0_8identityIlEEEEvT1_mT2_T3_
; %bb.0:
	s_clause 0x2
	s_load_b32 s3, s[0:1], 0x20
	s_load_b128 s[4:7], s[0:1], 0x0
	s_load_b64 s[0:1], s[0:1], 0x10
	v_lshlrev_b32_e32 v2, 3, v0
	s_lshl_b32 s2, s15, 9
	s_waitcnt lgkmcnt(0)
	s_add_i32 s7, s3, -1
	s_mov_b32 s3, 0
	s_cmp_lg_u32 s15, s7
	s_mov_b32 s7, -1
	s_cbranch_scc0 .LBB31_2
; %bb.1:
	s_lshl_b64 s[8:9], s[2:3], 3
	s_mov_b32 s7, s3
	s_add_u32 s10, s4, s8
	s_addc_u32 s11, s5, s9
	s_add_u32 s8, s0, s8
	global_load_b64 v[3:4], v2, s[10:11]
	s_addc_u32 s9, s1, s9
	s_waitcnt vmcnt(0)
	global_store_b64 v2, v[3:4], s[8:9]
.LBB31_2:
	s_and_not1_b32 vcc_lo, exec_lo, s7
	s_cbranch_vccnz .LBB31_7
; %bb.3:
	s_sub_i32 s6, s6, s2
	s_delay_alu instid0(SALU_CYCLE_1)
	v_cmp_gt_u32_e32 vcc_lo, s6, v0
                                        ; implicit-def: $vgpr0_vgpr1
	s_and_saveexec_b32 s6, vcc_lo
	s_cbranch_execz .LBB31_5
; %bb.4:
	s_lshl_b64 s[8:9], s[2:3], 3
	s_delay_alu instid0(SALU_CYCLE_1)
	s_add_u32 s4, s4, s8
	s_addc_u32 s5, s5, s9
	global_load_b64 v[0:1], v2, s[4:5]
.LBB31_5:
	s_or_b32 exec_lo, exec_lo, s6
	s_and_saveexec_b32 s4, vcc_lo
	s_cbranch_execz .LBB31_7
; %bb.6:
	s_lshl_b64 s[2:3], s[2:3], 3
	s_delay_alu instid0(SALU_CYCLE_1)
	s_add_u32 s0, s0, s2
	s_addc_u32 s1, s1, s3
	s_waitcnt vmcnt(0)
	global_store_b64 v2, v[0:1], s[0:1]
.LBB31_7:
	s_nop 0
	s_sendmsg sendmsg(MSG_DEALLOC_VGPRS)
	s_endpgm
	.section	.rodata,"a",@progbits
	.p2align	6, 0x0
	.amdhsa_kernel _ZN7rocprim17ROCPRIM_304000_NS6detail16transform_kernelINS1_24wrapped_transform_configINS0_14default_configElEElPlS6_NS0_8identityIlEEEEvT1_mT2_T3_
		.amdhsa_group_segment_fixed_size 0
		.amdhsa_private_segment_fixed_size 0
		.amdhsa_kernarg_size 288
		.amdhsa_user_sgpr_count 15
		.amdhsa_user_sgpr_dispatch_ptr 0
		.amdhsa_user_sgpr_queue_ptr 0
		.amdhsa_user_sgpr_kernarg_segment_ptr 1
		.amdhsa_user_sgpr_dispatch_id 0
		.amdhsa_user_sgpr_private_segment_size 0
		.amdhsa_wavefront_size32 1
		.amdhsa_uses_dynamic_stack 0
		.amdhsa_enable_private_segment 0
		.amdhsa_system_sgpr_workgroup_id_x 1
		.amdhsa_system_sgpr_workgroup_id_y 0
		.amdhsa_system_sgpr_workgroup_id_z 0
		.amdhsa_system_sgpr_workgroup_info 0
		.amdhsa_system_vgpr_workitem_id 0
		.amdhsa_next_free_vgpr 5
		.amdhsa_next_free_sgpr 16
		.amdhsa_reserve_vcc 1
		.amdhsa_float_round_mode_32 0
		.amdhsa_float_round_mode_16_64 0
		.amdhsa_float_denorm_mode_32 3
		.amdhsa_float_denorm_mode_16_64 3
		.amdhsa_dx10_clamp 1
		.amdhsa_ieee_mode 1
		.amdhsa_fp16_overflow 0
		.amdhsa_workgroup_processor_mode 1
		.amdhsa_memory_ordered 1
		.amdhsa_forward_progress 0
		.amdhsa_shared_vgpr_count 0
		.amdhsa_exception_fp_ieee_invalid_op 0
		.amdhsa_exception_fp_denorm_src 0
		.amdhsa_exception_fp_ieee_div_zero 0
		.amdhsa_exception_fp_ieee_overflow 0
		.amdhsa_exception_fp_ieee_underflow 0
		.amdhsa_exception_fp_ieee_inexact 0
		.amdhsa_exception_int_div_zero 0
	.end_amdhsa_kernel
	.section	.text._ZN7rocprim17ROCPRIM_304000_NS6detail16transform_kernelINS1_24wrapped_transform_configINS0_14default_configElEElPlS6_NS0_8identityIlEEEEvT1_mT2_T3_,"axG",@progbits,_ZN7rocprim17ROCPRIM_304000_NS6detail16transform_kernelINS1_24wrapped_transform_configINS0_14default_configElEElPlS6_NS0_8identityIlEEEEvT1_mT2_T3_,comdat
.Lfunc_end31:
	.size	_ZN7rocprim17ROCPRIM_304000_NS6detail16transform_kernelINS1_24wrapped_transform_configINS0_14default_configElEElPlS6_NS0_8identityIlEEEEvT1_mT2_T3_, .Lfunc_end31-_ZN7rocprim17ROCPRIM_304000_NS6detail16transform_kernelINS1_24wrapped_transform_configINS0_14default_configElEElPlS6_NS0_8identityIlEEEEvT1_mT2_T3_
                                        ; -- End function
	.section	.AMDGPU.csdata,"",@progbits
; Kernel info:
; codeLenInByte = 208
; NumSgprs: 18
; NumVgprs: 5
; ScratchSize: 0
; MemoryBound: 0
; FloatMode: 240
; IeeeMode: 1
; LDSByteSize: 0 bytes/workgroup (compile time only)
; SGPRBlocks: 2
; VGPRBlocks: 0
; NumSGPRsForWavesPerEU: 18
; NumVGPRsForWavesPerEU: 5
; Occupancy: 16
; WaveLimiterHint : 0
; COMPUTE_PGM_RSRC2:SCRATCH_EN: 0
; COMPUTE_PGM_RSRC2:USER_SGPR: 15
; COMPUTE_PGM_RSRC2:TRAP_HANDLER: 0
; COMPUTE_PGM_RSRC2:TGID_X_EN: 1
; COMPUTE_PGM_RSRC2:TGID_Y_EN: 0
; COMPUTE_PGM_RSRC2:TGID_Z_EN: 0
; COMPUTE_PGM_RSRC2:TIDIG_COMP_CNT: 0
	.section	.text._ZN7rocprim17ROCPRIM_304000_NS6detail18single_scan_kernelILb0ENS1_19wrapped_scan_configINS0_14default_configElEEPKlPlSt10multipliesIlEllEEvT1_mT4_T2_T3_,"axG",@progbits,_ZN7rocprim17ROCPRIM_304000_NS6detail18single_scan_kernelILb0ENS1_19wrapped_scan_configINS0_14default_configElEEPKlPlSt10multipliesIlEllEEvT1_mT4_T2_T3_,comdat
	.protected	_ZN7rocprim17ROCPRIM_304000_NS6detail18single_scan_kernelILb0ENS1_19wrapped_scan_configINS0_14default_configElEEPKlPlSt10multipliesIlEllEEvT1_mT4_T2_T3_ ; -- Begin function _ZN7rocprim17ROCPRIM_304000_NS6detail18single_scan_kernelILb0ENS1_19wrapped_scan_configINS0_14default_configElEEPKlPlSt10multipliesIlEllEEvT1_mT4_T2_T3_
	.globl	_ZN7rocprim17ROCPRIM_304000_NS6detail18single_scan_kernelILb0ENS1_19wrapped_scan_configINS0_14default_configElEEPKlPlSt10multipliesIlEllEEvT1_mT4_T2_T3_
	.p2align	8
	.type	_ZN7rocprim17ROCPRIM_304000_NS6detail18single_scan_kernelILb0ENS1_19wrapped_scan_configINS0_14default_configElEEPKlPlSt10multipliesIlEllEEvT1_mT4_T2_T3_,@function
_ZN7rocprim17ROCPRIM_304000_NS6detail18single_scan_kernelILb0ENS1_19wrapped_scan_configINS0_14default_configElEEPKlPlSt10multipliesIlEllEEvT1_mT4_T2_T3_: ; @_ZN7rocprim17ROCPRIM_304000_NS6detail18single_scan_kernelILb0ENS1_19wrapped_scan_configINS0_14default_configElEEPKlPlSt10multipliesIlEllEEvT1_mT4_T2_T3_
; %bb.0:
	s_load_b128 s[16:19], s[0:1], 0x0
	s_waitcnt lgkmcnt(0)
	s_load_b64 s[36:37], s[16:17], 0x0
	v_cmp_gt_u32_e32 vcc_lo, s18, v0
	s_waitcnt lgkmcnt(0)
	s_mov_b32 s38, s36
	s_mov_b32 s39, s37
	;; [unrolled: 1-line block ×30, first 2 shown]
	v_lshlrev_b32_e32 v55, 3, v0
	v_dual_mov_b32 v1, s36 :: v_dual_mov_b32 v4, s39
	v_dual_mov_b32 v2, s37 :: v_dual_mov_b32 v33, s36
	s_delay_alu instid0(VALU_DEP_3) | instskip(NEXT) | instid1(VALU_DEP_1)
	v_add_co_u32 v35, s2, s16, v55
	v_add_co_ci_u32_e64 v36, null, s17, 0, s2
	v_dual_mov_b32 v3, s38 :: v_dual_mov_b32 v6, s41
	v_dual_mov_b32 v5, s40 :: v_dual_mov_b32 v8, s43
	;; [unrolled: 1-line block ×15, first 2 shown]
	s_and_saveexec_b32 s2, vcc_lo
	s_cbranch_execz .LBB32_2
; %bb.1:
	global_load_b64 v[33:34], v[35:36], off
	v_dual_mov_b32 v1, s36 :: v_dual_mov_b32 v2, s37
	v_dual_mov_b32 v3, s38 :: v_dual_mov_b32 v4, s39
	;; [unrolled: 1-line block ×16, first 2 shown]
.LBB32_2:
	s_or_b32 exec_lo, exec_lo, s2
	v_or_b32_e32 v1, 0x100, v0
	s_delay_alu instid0(VALU_DEP_1) | instskip(NEXT) | instid1(VALU_DEP_1)
	v_cmp_gt_u32_e64 s2, s18, v1
	s_and_saveexec_b32 s3, s2
	s_cbranch_execz .LBB32_4
; %bb.3:
	global_load_b64 v[3:4], v[35:36], off offset:2048
.LBB32_4:
	s_or_b32 exec_lo, exec_lo, s3
	v_or_b32_e32 v2, 0x200, v0
	s_delay_alu instid0(VALU_DEP_1) | instskip(NEXT) | instid1(VALU_DEP_1)
	v_cmp_gt_u32_e64 s3, s18, v2
	s_and_saveexec_b32 s5, s3
	s_cbranch_execz .LBB32_6
; %bb.5:
	v_add_co_u32 v5, s4, 0x1000, v35
	s_delay_alu instid0(VALU_DEP_1)
	v_add_co_ci_u32_e64 v6, s4, 0, v36, s4
	global_load_b64 v[5:6], v[5:6], off
.LBB32_6:
	s_or_b32 exec_lo, exec_lo, s5
	v_or_b32_e32 v37, 0x300, v0
	s_delay_alu instid0(VALU_DEP_1) | instskip(NEXT) | instid1(VALU_DEP_1)
	v_cmp_gt_u32_e64 s4, s18, v37
	s_and_saveexec_b32 s6, s4
	s_cbranch_execz .LBB32_8
; %bb.7:
	v_add_co_u32 v7, s5, 0x1000, v35
	s_delay_alu instid0(VALU_DEP_1)
	v_add_co_ci_u32_e64 v8, s5, 0, v36, s5
	global_load_b64 v[7:8], v[7:8], off offset:2048
.LBB32_8:
	s_or_b32 exec_lo, exec_lo, s6
	v_or_b32_e32 v38, 0x400, v0
	s_delay_alu instid0(VALU_DEP_1) | instskip(NEXT) | instid1(VALU_DEP_1)
	v_cmp_gt_u32_e64 s5, s18, v38
	s_and_saveexec_b32 s7, s5
	s_cbranch_execz .LBB32_10
; %bb.9:
	v_add_co_u32 v9, s6, 0x2000, v35
	s_delay_alu instid0(VALU_DEP_1)
	v_add_co_ci_u32_e64 v10, s6, 0, v36, s6
	global_load_b64 v[9:10], v[9:10], off
.LBB32_10:
	s_or_b32 exec_lo, exec_lo, s7
	v_or_b32_e32 v39, 0x500, v0
	s_delay_alu instid0(VALU_DEP_1) | instskip(NEXT) | instid1(VALU_DEP_1)
	v_cmp_gt_u32_e64 s6, s18, v39
	s_and_saveexec_b32 s8, s6
	s_cbranch_execz .LBB32_12
; %bb.11:
	v_add_co_u32 v11, s7, 0x2000, v35
	s_delay_alu instid0(VALU_DEP_1)
	v_add_co_ci_u32_e64 v12, s7, 0, v36, s7
	global_load_b64 v[11:12], v[11:12], off offset:2048
.LBB32_12:
	;; [unrolled: 24-line block ×7, first 2 shown]
	s_or_b32 exec_lo, exec_lo, s18
	v_lshrrev_b32_e32 v1, 2, v1
	v_lshrrev_b32_e32 v2, 2, v2
	;; [unrolled: 1-line block ×5, first 2 shown]
	v_and_b32_e32 v1, 0x78, v1
	v_lshrrev_b32_e32 v38, 2, v39
	v_and_b32_e32 v2, 0xf8, v2
	v_and_b32_e32 v35, 56, v35
	s_mov_b32 s18, exec_lo
	v_add_nc_u32_e32 v57, v1, v55
	v_and_b32_e32 v1, 0xf8, v36
	v_add_nc_u32_e32 v58, v2, v55
	v_and_b32_e32 v2, 0x1f8, v38
	v_add_nc_u32_e32 v56, v35, v55
	s_waitcnt vmcnt(0)
	ds_store_b64 v56, v[33:34]
	ds_store_b64 v57, v[3:4] offset:2048
	v_add_nc_u32_e32 v59, v1, v55
	v_lshrrev_b32_e32 v1, 2, v40
	v_add_nc_u32_e32 v61, v2, v55
	v_lshrrev_b32_e32 v2, 2, v41
	v_lshrrev_b32_e32 v3, 2, v42
	;; [unrolled: 1-line block ×3, first 2 shown]
	v_and_b32_e32 v1, 0x1f8, v1
	v_and_b32_e32 v35, 0x1f8, v37
	ds_store_b64 v58, v[5:6] offset:4096
	v_and_b32_e32 v3, 0x3f8, v3
	v_and_b32_e32 v4, 0x3f8, v4
	v_add_nc_u32_e32 v62, v1, v55
	v_and_b32_e32 v1, 0x1f8, v2
	v_lshrrev_b32_e32 v2, 2, v44
	v_add_nc_u32_e32 v64, v3, v55
	v_lshrrev_b32_e32 v3, 2, v47
	v_add_nc_u32_e32 v65, v4, v55
	v_add_nc_u32_e32 v63, v1, v55
	v_and_b32_e32 v1, 0x3f8, v2
	v_lshrrev_b32_e32 v2, 2, v45
	v_and_b32_e32 v3, 0x3f8, v3
	v_lshrrev_b32_e32 v4, 2, v48
	v_add_nc_u32_e32 v60, v35, v55
	v_add_nc_u32_e32 v66, v1, v55
	v_and_b32_e32 v1, 0x3f8, v2
	v_lshrrev_b32_e32 v2, 2, v46
	v_add_nc_u32_e32 v69, v3, v55
	v_lshrrev_b32_e32 v3, 1, v0
	v_and_b32_e32 v4, 0x3f8, v4
	v_add_nc_u32_e32 v67, v1, v55
	v_and_b32_e32 v1, 0x3f8, v2
	v_lshrrev_b32_e32 v2, 2, v49
	ds_store_b64 v59, v[7:8] offset:6144
	ds_store_b64 v60, v[9:10] offset:8192
	v_add_nc_u32_e32 v70, v4, v55
	ds_store_b64 v61, v[11:12] offset:10240
	v_add_nc_u32_e32 v68, v1, v55
	v_and_b32_e32 v1, 0x3f8, v2
	v_lshlrev_b32_e32 v2, 4, v0
	ds_store_b64 v62, v[13:14] offset:12288
	ds_store_b64 v63, v[15:16] offset:14336
	;; [unrolled: 1-line block ×4, first 2 shown]
	v_add_nc_u32_e32 v71, v1, v55
	v_add_lshl_u32 v72, v3, v2, 3
	ds_store_b64 v66, v[21:22] offset:20480
	ds_store_b64 v67, v[23:24] offset:22528
	;; [unrolled: 1-line block ×6, first 2 shown]
	s_waitcnt lgkmcnt(0)
	s_barrier
	buffer_gl0_inv
	ds_load_2addr_b64 v[29:32], v72 offset1:1
	ds_load_2addr_b64 v[17:20], v72 offset0:2 offset1:3
	ds_load_2addr_b64 v[25:28], v72 offset0:4 offset1:5
	ds_load_2addr_b64 v[13:16], v72 offset0:6 offset1:7
	ds_load_2addr_b64 v[21:24], v72 offset0:8 offset1:9
	s_waitcnt lgkmcnt(4)
	v_mul_lo_u32 v3, v32, v29
	v_mul_lo_u32 v4, v31, v30
	v_mad_u64_u32 v[1:2], null, v31, v29, 0
	s_delay_alu instid0(VALU_DEP_1) | instskip(SKIP_1) | instid1(VALU_DEP_2)
	v_add3_u32 v2, v2, v4, v3
	s_waitcnt lgkmcnt(3)
	v_mul_lo_u32 v5, v1, v18
	s_delay_alu instid0(VALU_DEP_2) | instskip(SKIP_1) | instid1(VALU_DEP_1)
	v_mul_lo_u32 v4, v2, v17
	v_mad_u64_u32 v[2:3], null, v1, v17, 0
	v_add3_u32 v1, v3, v5, v4
	s_delay_alu instid0(VALU_DEP_2) | instskip(SKIP_1) | instid1(VALU_DEP_3)
	v_mul_lo_u32 v5, v2, v20
	v_mad_u64_u32 v[3:4], null, v2, v19, 0
	v_mul_lo_u32 v1, v1, v19
	s_delay_alu instid0(VALU_DEP_1) | instskip(SKIP_1) | instid1(VALU_DEP_3)
	v_add3_u32 v1, v4, v5, v1
	s_waitcnt lgkmcnt(2)
	v_mul_lo_u32 v5, v3, v26
	s_delay_alu instid0(VALU_DEP_2) | instskip(SKIP_1) | instid1(VALU_DEP_1)
	v_mul_lo_u32 v4, v1, v25
	v_mad_u64_u32 v[1:2], null, v3, v25, 0
	v_add3_u32 v2, v2, v5, v4
	s_delay_alu instid0(VALU_DEP_2) | instskip(NEXT) | instid1(VALU_DEP_2)
	v_mul_lo_u32 v5, v1, v28
	v_mul_lo_u32 v4, v2, v27
	v_mad_u64_u32 v[2:3], null, v1, v27, 0
	s_delay_alu instid0(VALU_DEP_1) | instskip(SKIP_1) | instid1(VALU_DEP_2)
	v_add3_u32 v1, v3, v5, v4
	s_waitcnt lgkmcnt(1)
	v_mul_lo_u32 v5, v2, v14
	v_mad_u64_u32 v[3:4], null, v2, v13, 0
	s_delay_alu instid0(VALU_DEP_3) | instskip(NEXT) | instid1(VALU_DEP_1)
	v_mul_lo_u32 v1, v1, v13
	v_add3_u32 v4, v4, v5, v1
	s_delay_alu instid0(VALU_DEP_3) | instskip(SKIP_1) | instid1(VALU_DEP_3)
	v_mul_lo_u32 v5, v3, v16
	v_mad_u64_u32 v[1:2], null, v3, v15, 0
	v_mul_lo_u32 v3, v4, v15
	s_delay_alu instid0(VALU_DEP_1)
	v_add3_u32 v4, v2, v5, v3
	ds_load_2addr_b64 v[5:8], v72 offset0:10 offset1:11
	s_waitcnt lgkmcnt(1)
	v_mul_lo_u32 v9, v1, v22
	v_mad_u64_u32 v[2:3], null, v1, v21, 0
	v_mul_lo_u32 v1, v4, v21
	s_delay_alu instid0(VALU_DEP_1) | instskip(NEXT) | instid1(VALU_DEP_3)
	v_add3_u32 v1, v3, v9, v1
	v_mul_lo_u32 v9, v2, v24
	v_mad_u64_u32 v[3:4], null, v2, v23, 0
	s_delay_alu instid0(VALU_DEP_3) | instskip(SKIP_1) | instid1(VALU_DEP_2)
	v_mul_lo_u32 v1, v1, v23
	s_waitcnt lgkmcnt(0)
	v_mul_lo_u32 v33, v3, v6
	s_delay_alu instid0(VALU_DEP_2) | instskip(SKIP_3) | instid1(VALU_DEP_1)
	v_add3_u32 v4, v4, v9, v1
	v_mad_u64_u32 v[1:2], null, v3, v5, 0
	ds_load_2addr_b64 v[9:12], v72 offset0:12 offset1:13
	v_mul_lo_u32 v3, v4, v5
	v_add3_u32 v2, v2, v33, v3
	v_mul_lo_u32 v3, v1, v8
	v_mad_u64_u32 v[33:34], null, v1, v7, 0
	s_delay_alu instid0(VALU_DEP_3) | instskip(NEXT) | instid1(VALU_DEP_1)
	v_mul_lo_u32 v1, v2, v7
	v_add3_u32 v36, v34, v3, v1
	ds_load_2addr_b64 v[1:4], v72 offset0:14 offset1:15
	s_waitcnt lgkmcnt(1)
	v_mul_lo_u32 v37, v33, v10
	v_mad_u64_u32 v[34:35], null, v33, v9, 0
	v_mul_lo_u32 v33, v36, v9
	s_waitcnt lgkmcnt(0)
	s_barrier
	buffer_gl0_inv
	v_add3_u32 v33, v35, v37, v33
	v_mul_lo_u32 v37, v34, v12
	v_mad_u64_u32 v[35:36], null, v34, v11, 0
	s_delay_alu instid0(VALU_DEP_3) | instskip(NEXT) | instid1(VALU_DEP_1)
	v_mul_lo_u32 v33, v33, v11
	v_add3_u32 v36, v36, v37, v33
	s_delay_alu instid0(VALU_DEP_3) | instskip(SKIP_1) | instid1(VALU_DEP_3)
	v_mul_lo_u32 v37, v35, v2
	v_mad_u64_u32 v[33:34], null, v35, v1, 0
	v_mul_lo_u32 v35, v36, v1
	s_delay_alu instid0(VALU_DEP_2) | instskip(NEXT) | instid1(VALU_DEP_2)
	v_mad_u64_u32 v[49:50], null, v33, v3, 0
	v_add3_u32 v34, v34, v37, v35
	v_mul_lo_u32 v35, v33, v4
	s_delay_alu instid0(VALU_DEP_2) | instskip(NEXT) | instid1(VALU_DEP_1)
	v_mul_lo_u32 v33, v34, v3
	v_add3_u32 v50, v50, v35, v33
	ds_store_b64 v56, v[49:50]
	s_waitcnt lgkmcnt(0)
	s_barrier
	buffer_gl0_inv
	v_cmpx_gt_u32_e32 32, v0
	s_cbranch_execz .LBB32_44
; %bb.33:
	v_lshlrev_b32_e32 v33, 1, v0
	s_mov_b32 s19, exec_lo
	s_delay_alu instid0(VALU_DEP_1) | instskip(NEXT) | instid1(VALU_DEP_1)
	v_and_b32_e32 v33, 0x1f8, v33
	v_lshl_or_b32 v73, v0, 6, v33
	ds_load_2addr_b64 v[45:48], v73 offset1:1
	ds_load_2addr_b64 v[41:44], v73 offset0:2 offset1:3
	ds_load_2addr_b64 v[37:40], v73 offset0:4 offset1:5
	s_waitcnt lgkmcnt(2)
	v_mul_lo_u32 v35, v48, v45
	v_mul_lo_u32 v36, v47, v46
	v_mad_u64_u32 v[33:34], null, v47, v45, 0
	s_delay_alu instid0(VALU_DEP_1) | instskip(SKIP_1) | instid1(VALU_DEP_2)
	v_add3_u32 v36, v34, v36, v35
	s_waitcnt lgkmcnt(1)
	v_mul_lo_u32 v51, v33, v42
	v_mad_u64_u32 v[34:35], null, v33, v41, 0
	s_delay_alu instid0(VALU_DEP_3) | instskip(NEXT) | instid1(VALU_DEP_1)
	v_mul_lo_u32 v33, v36, v41
	v_add3_u32 v33, v35, v51, v33
	s_delay_alu instid0(VALU_DEP_3) | instskip(SKIP_1) | instid1(VALU_DEP_3)
	v_mul_lo_u32 v35, v34, v44
	v_mad_u64_u32 v[51:52], null, v34, v43, 0
	v_mul_lo_u32 v33, v33, v43
	s_delay_alu instid0(VALU_DEP_1)
	v_add3_u32 v54, v52, v35, v33
	ds_load_2addr_b64 v[33:36], v73 offset0:6 offset1:7
	s_waitcnt lgkmcnt(1)
	v_mul_lo_u32 v74, v51, v38
	v_mad_u64_u32 v[52:53], null, v51, v37, 0
	v_mul_lo_u32 v51, v54, v37
	s_delay_alu instid0(VALU_DEP_1) | instskip(NEXT) | instid1(VALU_DEP_3)
	v_add3_u32 v51, v53, v74, v51
	v_mul_lo_u32 v74, v52, v40
	v_mad_u64_u32 v[53:54], null, v52, v39, 0
	s_delay_alu instid0(VALU_DEP_3) | instskip(SKIP_1) | instid1(VALU_DEP_2)
	v_mul_lo_u32 v51, v51, v39
	s_waitcnt lgkmcnt(0)
	v_mul_lo_u32 v52, v53, v34
	s_delay_alu instid0(VALU_DEP_2) | instskip(SKIP_1) | instid1(VALU_DEP_2)
	v_add3_u32 v51, v54, v74, v51
	v_mad_u64_u32 v[74:75], null, v53, v33, 0
	v_mul_lo_u32 v51, v51, v33
	s_delay_alu instid0(VALU_DEP_2) | instskip(NEXT) | instid1(VALU_DEP_2)
	v_mul_lo_u32 v54, v74, v36
	v_add3_u32 v53, v75, v52, v51
	v_mad_u64_u32 v[51:52], null, v74, v35, 0
	v_mbcnt_lo_u32_b32 v74, -1, 0
	s_delay_alu instid0(VALU_DEP_3) | instskip(NEXT) | instid1(VALU_DEP_2)
	v_mul_lo_u32 v53, v53, v35
	v_and_b32_e32 v75, 15, v74
	s_delay_alu instid0(VALU_DEP_4) | instskip(NEXT) | instid1(VALU_DEP_3)
	v_mov_b32_dpp v76, v51 row_shr:1 row_mask:0xf bank_mask:0xf
	v_add3_u32 v52, v52, v54, v53
	s_delay_alu instid0(VALU_DEP_1)
	v_mov_b32_e32 v54, v52
	v_mov_b32_dpp v77, v52 row_shr:1 row_mask:0xf bank_mask:0xf
	v_mov_b32_e32 v53, v51
	v_cmpx_ne_u32_e32 0, v75
; %bb.34:
	s_delay_alu instid0(VALU_DEP_3) | instskip(SKIP_2) | instid1(VALU_DEP_1)
	v_mul_lo_u32 v77, v77, v51
	v_mul_lo_u32 v52, v76, v52
	v_mad_u64_u32 v[53:54], null, v76, v51, 0
	v_add3_u32 v54, v54, v52, v77
	s_delay_alu instid0(VALU_DEP_1)
	v_dual_mov_b32 v51, v53 :: v_dual_mov_b32 v52, v54
; %bb.35:
	s_or_b32 exec_lo, exec_lo, s19
	s_delay_alu instid0(VALU_DEP_1) | instskip(NEXT) | instid1(VALU_DEP_2)
	v_mov_b32_dpp v76, v51 row_shr:2 row_mask:0xf bank_mask:0xf
	v_mov_b32_dpp v77, v52 row_shr:2 row_mask:0xf bank_mask:0xf
	s_mov_b32 s19, exec_lo
	v_cmpx_lt_u32_e32 1, v75
; %bb.36:
	s_delay_alu instid0(VALU_DEP_2) | instskip(SKIP_2) | instid1(VALU_DEP_1)
	v_mul_lo_u32 v77, v77, v53
	v_mul_lo_u32 v54, v76, v54
	v_mad_u64_u32 v[51:52], null, v76, v53, 0
	v_add3_u32 v52, v52, v54, v77
	s_delay_alu instid0(VALU_DEP_1)
	v_dual_mov_b32 v54, v52 :: v_dual_mov_b32 v53, v51
; %bb.37:
	s_or_b32 exec_lo, exec_lo, s19
	v_mov_b32_dpp v76, v51 row_shr:4 row_mask:0xf bank_mask:0xf
	v_mov_b32_dpp v77, v52 row_shr:4 row_mask:0xf bank_mask:0xf
	s_mov_b32 s19, exec_lo
	v_cmpx_lt_u32_e32 3, v75
; %bb.38:
	s_delay_alu instid0(VALU_DEP_2) | instskip(SKIP_2) | instid1(VALU_DEP_1)
	v_mul_lo_u32 v77, v77, v53
	v_mul_lo_u32 v54, v76, v54
	v_mad_u64_u32 v[51:52], null, v76, v53, 0
	v_add3_u32 v52, v52, v54, v77
	s_delay_alu instid0(VALU_DEP_1)
	v_dual_mov_b32 v54, v52 :: v_dual_mov_b32 v53, v51
; %bb.39:
	s_or_b32 exec_lo, exec_lo, s19
	;; [unrolled: 14-line block ×3, first 2 shown]
	ds_swizzle_b32 v75, v51 offset:swizzle(BROADCAST,32,15)
	ds_swizzle_b32 v76, v52 offset:swizzle(BROADCAST,32,15)
	v_and_b32_e32 v77, 16, v74
	s_mov_b32 s19, exec_lo
	s_delay_alu instid0(VALU_DEP_1)
	v_cmpx_ne_u32_e32 0, v77
	s_cbranch_execz .LBB32_43
; %bb.42:
	s_waitcnt lgkmcnt(0)
	v_mul_lo_u32 v76, v76, v53
	v_mul_lo_u32 v54, v75, v54
	v_mad_u64_u32 v[51:52], null, v75, v53, 0
	s_delay_alu instid0(VALU_DEP_1)
	v_add3_u32 v52, v52, v54, v76
.LBB32_43:
	s_or_b32 exec_lo, exec_lo, s19
	v_add_nc_u32_e32 v53, -1, v74
	s_delay_alu instid0(VALU_DEP_1) | instskip(NEXT) | instid1(VALU_DEP_1)
	v_cmp_gt_i32_e64 s17, 0, v53
	v_cndmask_b32_e64 v53, v53, v74, s17
	v_cmp_eq_u32_e64 s17, 0, v0
	s_delay_alu instid0(VALU_DEP_2)
	v_lshlrev_b32_e32 v53, 2, v53
	ds_bpermute_b32 v52, v53, v52
	ds_bpermute_b32 v53, v53, v51
	s_waitcnt lgkmcnt(1)
	v_mul_lo_u32 v54, v52, v45
	s_waitcnt lgkmcnt(0)
	v_mul_lo_u32 v46, v53, v46
	v_mad_u64_u32 v[51:52], null, v53, v45, 0
	s_delay_alu instid0(VALU_DEP_1) | instskip(NEXT) | instid1(VALU_DEP_1)
	v_add3_u32 v45, v52, v46, v54
	v_cndmask_b32_e64 v46, v45, v50, s17
	s_delay_alu instid0(VALU_DEP_3) | instskip(NEXT) | instid1(VALU_DEP_2)
	v_cndmask_b32_e64 v45, v51, v49, s17
	v_mul_lo_u32 v50, v46, v47
	s_delay_alu instid0(VALU_DEP_2) | instskip(SKIP_1) | instid1(VALU_DEP_1)
	v_mul_lo_u32 v51, v45, v48
	v_mad_u64_u32 v[48:49], null, v45, v47, 0
	v_add3_u32 v49, v49, v51, v50
	s_delay_alu instid0(VALU_DEP_2) | instskip(SKIP_1) | instid1(VALU_DEP_3)
	v_mul_lo_u32 v42, v48, v42
	v_mad_u64_u32 v[50:51], null, v48, v41, 0
	v_mul_lo_u32 v41, v49, v41
	s_delay_alu instid0(VALU_DEP_2) | instskip(NEXT) | instid1(VALU_DEP_2)
	v_mul_lo_u32 v44, v50, v44
	v_add3_u32 v51, v51, v42, v41
	v_mad_u64_u32 v[41:42], null, v50, v43, 0
	s_delay_alu instid0(VALU_DEP_2) | instskip(NEXT) | instid1(VALU_DEP_2)
	v_mul_lo_u32 v43, v51, v43
	v_mul_lo_u32 v38, v41, v38
	s_delay_alu instid0(VALU_DEP_2) | instskip(SKIP_1) | instid1(VALU_DEP_2)
	v_add3_u32 v42, v42, v44, v43
	v_mad_u64_u32 v[43:44], null, v41, v37, 0
	v_mul_lo_u32 v37, v42, v37
	s_delay_alu instid0(VALU_DEP_2) | instskip(NEXT) | instid1(VALU_DEP_2)
	v_mul_lo_u32 v40, v43, v40
	v_add3_u32 v44, v44, v38, v37
	v_mad_u64_u32 v[37:38], null, v43, v39, 0
	s_delay_alu instid0(VALU_DEP_2) | instskip(NEXT) | instid1(VALU_DEP_2)
	v_mul_lo_u32 v39, v44, v39
	v_mul_lo_u32 v34, v37, v34
	s_delay_alu instid0(VALU_DEP_2) | instskip(SKIP_1) | instid1(VALU_DEP_2)
	v_add3_u32 v38, v38, v40, v39
	v_mad_u64_u32 v[39:40], null, v37, v33, 0
	v_mul_lo_u32 v33, v38, v33
	s_delay_alu instid0(VALU_DEP_2) | instskip(NEXT) | instid1(VALU_DEP_2)
	v_mul_lo_u32 v36, v39, v36
	v_add3_u32 v40, v40, v34, v33
	v_mad_u64_u32 v[33:34], null, v39, v35, 0
	s_delay_alu instid0(VALU_DEP_2) | instskip(NEXT) | instid1(VALU_DEP_1)
	v_mul_lo_u32 v47, v40, v35
	v_add3_u32 v34, v34, v36, v47
	ds_store_2addr_b64 v73, v[45:46], v[48:49] offset1:1
	ds_store_2addr_b64 v73, v[50:51], v[41:42] offset0:2 offset1:3
	ds_store_2addr_b64 v73, v[43:44], v[37:38] offset0:4 offset1:5
	;; [unrolled: 1-line block ×3, first 2 shown]
.LBB32_44:
	s_or_b32 exec_lo, exec_lo, s18
	v_mov_b32_e32 v33, 1
	v_mov_b32_e32 v34, 0
	s_mov_b32 s18, exec_lo
	s_waitcnt lgkmcnt(0)
	s_barrier
	buffer_gl0_inv
	v_cmpx_ne_u32_e32 0, v0
	s_cbranch_execz .LBB32_46
; %bb.45:
	v_add_nc_u32_e32 v0, -1, v0
	s_delay_alu instid0(VALU_DEP_1) | instskip(NEXT) | instid1(VALU_DEP_1)
	v_lshrrev_b32_e32 v33, 5, v0
	v_add_lshl_u32 v0, v33, v0, 3
	ds_load_b64 v[33:34], v0
.LBB32_46:
	s_or_b32 exec_lo, exec_lo, s18
	s_waitcnt lgkmcnt(0)
	v_mul_lo_u32 v0, v34, v29
	v_mul_lo_u32 v30, v33, v30
	v_mad_u64_u32 v[34:35], null, v33, v29, 0
	s_barrier
	buffer_gl0_inv
	s_load_b64 s[0:1], s[0:1], 0x18
	v_add3_u32 v35, v35, v30, v0
	v_mul_lo_u32 v0, v34, v32
	v_mad_u64_u32 v[29:30], null, v34, v31, 0
	s_delay_alu instid0(VALU_DEP_3) | instskip(NEXT) | instid1(VALU_DEP_1)
	v_mul_lo_u32 v31, v35, v31
	v_add3_u32 v30, v30, v0, v31
	s_delay_alu instid0(VALU_DEP_3) | instskip(SKIP_1) | instid1(VALU_DEP_3)
	v_mul_lo_u32 v0, v29, v18
	v_mad_u64_u32 v[31:32], null, v29, v17, 0
	v_mul_lo_u32 v17, v30, v17
	s_delay_alu instid0(VALU_DEP_1) | instskip(NEXT) | instid1(VALU_DEP_3)
	v_add3_u32 v32, v32, v0, v17
	v_mul_lo_u32 v0, v31, v20
	v_mad_u64_u32 v[17:18], null, v31, v19, 0
	s_delay_alu instid0(VALU_DEP_3) | instskip(NEXT) | instid1(VALU_DEP_1)
	v_mul_lo_u32 v19, v32, v19
	v_add3_u32 v18, v18, v0, v19
	s_delay_alu instid0(VALU_DEP_3) | instskip(SKIP_4) | instid1(VALU_DEP_1)
	v_mul_lo_u32 v0, v17, v26
	v_mad_u64_u32 v[19:20], null, v17, v25, 0
	ds_store_2addr_b64 v72, v[34:35], v[29:30] offset1:1
	ds_store_2addr_b64 v72, v[31:32], v[17:18] offset0:2 offset1:3
	v_mul_lo_u32 v25, v18, v25
	v_add3_u32 v20, v20, v0, v25
	v_mul_lo_u32 v0, v19, v28
	v_mad_u64_u32 v[25:26], null, v19, v27, 0
	s_delay_alu instid0(VALU_DEP_3) | instskip(NEXT) | instid1(VALU_DEP_1)
	v_mul_lo_u32 v27, v20, v27
	v_add3_u32 v26, v26, v0, v27
	s_delay_alu instid0(VALU_DEP_3) | instskip(SKIP_1) | instid1(VALU_DEP_3)
	v_mul_lo_u32 v0, v25, v14
	v_mad_u64_u32 v[27:28], null, v25, v13, 0
	v_mul_lo_u32 v13, v26, v13
	s_delay_alu instid0(VALU_DEP_1) | instskip(NEXT) | instid1(VALU_DEP_3)
	v_add3_u32 v28, v28, v0, v13
	v_mul_lo_u32 v0, v27, v16
	v_mad_u64_u32 v[13:14], null, v27, v15, 0
	s_delay_alu instid0(VALU_DEP_3) | instskip(NEXT) | instid1(VALU_DEP_1)
	v_mul_lo_u32 v15, v28, v15
	v_add3_u32 v14, v14, v0, v15
	s_delay_alu instid0(VALU_DEP_3) | instskip(SKIP_1) | instid1(VALU_DEP_3)
	v_mul_lo_u32 v0, v13, v22
	v_mad_u64_u32 v[15:16], null, v13, v21, 0
	v_mul_lo_u32 v21, v14, v21
	s_delay_alu instid0(VALU_DEP_1) | instskip(NEXT) | instid1(VALU_DEP_3)
	;; [unrolled: 11-line block ×4, first 2 shown]
	v_add3_u32 v8, v8, v0, v9
	v_mul_lo_u32 v0, v7, v12
	v_mad_u64_u32 v[9:10], null, v7, v11, 0
	s_delay_alu instid0(VALU_DEP_3) | instskip(NEXT) | instid1(VALU_DEP_1)
	v_mul_lo_u32 v11, v8, v11
	v_add3_u32 v10, v10, v0, v11
	s_delay_alu instid0(VALU_DEP_3) | instskip(SKIP_1) | instid1(VALU_DEP_3)
	v_mul_lo_u32 v0, v9, v2
	v_mad_u64_u32 v[11:12], null, v9, v1, 0
	v_mul_lo_u32 v1, v10, v1
	s_delay_alu instid0(VALU_DEP_2) | instskip(NEXT) | instid1(VALU_DEP_2)
	v_mul_lo_u32 v2, v11, v4
	v_add3_u32 v12, v12, v0, v1
	v_mad_u64_u32 v[0:1], null, v11, v3, 0
	s_delay_alu instid0(VALU_DEP_2) | instskip(NEXT) | instid1(VALU_DEP_1)
	v_mul_lo_u32 v3, v12, v3
	v_add3_u32 v1, v1, v2, v3
	ds_store_2addr_b64 v72, v[19:20], v[25:26] offset0:4 offset1:5
	ds_store_2addr_b64 v72, v[27:28], v[13:14] offset0:6 offset1:7
	;; [unrolled: 1-line block ×6, first 2 shown]
	s_waitcnt lgkmcnt(0)
	s_barrier
	buffer_gl0_inv
	ds_load_b64 v[30:31], v57 offset:2048
	ds_load_b64 v[28:29], v58 offset:4096
	ds_load_b64 v[26:27], v59 offset:6144
	ds_load_b64 v[24:25], v60 offset:8192
	ds_load_b64 v[22:23], v61 offset:10240
	ds_load_b64 v[20:21], v62 offset:12288
	ds_load_b64 v[18:19], v63 offset:14336
	ds_load_b64 v[16:17], v64 offset:16384
	ds_load_b64 v[14:15], v65 offset:18432
	ds_load_b64 v[12:13], v66 offset:20480
	ds_load_b64 v[10:11], v67 offset:22528
	ds_load_b64 v[8:9], v68 offset:24576
	ds_load_b64 v[6:7], v69 offset:26624
	ds_load_b64 v[4:5], v70 offset:28672
	ds_load_b64 v[0:1], v71 offset:30720
	v_add_co_u32 v2, s0, s0, v55
	s_delay_alu instid0(VALU_DEP_1)
	v_add_co_ci_u32_e64 v3, null, s1, 0, s0
	s_and_saveexec_b32 s0, vcc_lo
	s_cbranch_execnz .LBB32_63
; %bb.47:
	s_or_b32 exec_lo, exec_lo, s0
	s_and_saveexec_b32 s0, s2
	s_cbranch_execnz .LBB32_64
.LBB32_48:
	s_or_b32 exec_lo, exec_lo, s0
	s_and_saveexec_b32 s0, s3
	s_cbranch_execnz .LBB32_65
.LBB32_49:
	s_or_b32 exec_lo, exec_lo, s0
	s_and_saveexec_b32 s0, s4
	s_cbranch_execnz .LBB32_66
.LBB32_50:
	s_or_b32 exec_lo, exec_lo, s0
	s_and_saveexec_b32 s0, s5
	s_cbranch_execnz .LBB32_67
.LBB32_51:
	s_or_b32 exec_lo, exec_lo, s0
	s_and_saveexec_b32 s0, s6
	s_cbranch_execnz .LBB32_68
.LBB32_52:
	s_or_b32 exec_lo, exec_lo, s0
	s_and_saveexec_b32 s0, s7
	s_cbranch_execnz .LBB32_69
.LBB32_53:
	s_or_b32 exec_lo, exec_lo, s0
	s_and_saveexec_b32 s0, s8
	s_cbranch_execnz .LBB32_70
.LBB32_54:
	s_or_b32 exec_lo, exec_lo, s0
	s_and_saveexec_b32 s0, s9
	s_cbranch_execnz .LBB32_71
.LBB32_55:
	s_or_b32 exec_lo, exec_lo, s0
	s_and_saveexec_b32 s0, s10
	s_cbranch_execnz .LBB32_72
.LBB32_56:
	s_or_b32 exec_lo, exec_lo, s0
	s_and_saveexec_b32 s0, s11
	s_cbranch_execnz .LBB32_73
.LBB32_57:
	s_or_b32 exec_lo, exec_lo, s0
	s_and_saveexec_b32 s0, s12
	s_cbranch_execnz .LBB32_74
.LBB32_58:
	s_or_b32 exec_lo, exec_lo, s0
	s_and_saveexec_b32 s0, s13
	s_cbranch_execnz .LBB32_75
.LBB32_59:
	s_or_b32 exec_lo, exec_lo, s0
	s_and_saveexec_b32 s0, s14
	s_cbranch_execnz .LBB32_76
.LBB32_60:
	s_or_b32 exec_lo, exec_lo, s0
	s_and_saveexec_b32 s0, s15
	s_cbranch_execnz .LBB32_77
.LBB32_61:
	s_or_b32 exec_lo, exec_lo, s0
	s_and_saveexec_b32 s0, s16
	s_cbranch_execnz .LBB32_78
.LBB32_62:
	s_nop 0
	s_sendmsg sendmsg(MSG_DEALLOC_VGPRS)
	s_endpgm
.LBB32_63:
	ds_load_b64 v[32:33], v56
	s_waitcnt lgkmcnt(0)
	global_store_b64 v[2:3], v[32:33], off
	s_or_b32 exec_lo, exec_lo, s0
	s_and_saveexec_b32 s0, s2
	s_cbranch_execz .LBB32_48
.LBB32_64:
	s_waitcnt lgkmcnt(14)
	global_store_b64 v[2:3], v[30:31], off offset:2048
	s_or_b32 exec_lo, exec_lo, s0
	s_and_saveexec_b32 s0, s3
	s_cbranch_execz .LBB32_49
.LBB32_65:
	s_waitcnt lgkmcnt(14)
	v_add_co_u32 v30, vcc_lo, 0x1000, v2
	v_add_co_ci_u32_e32 v31, vcc_lo, 0, v3, vcc_lo
	s_waitcnt lgkmcnt(13)
	global_store_b64 v[30:31], v[28:29], off
	s_or_b32 exec_lo, exec_lo, s0
	s_and_saveexec_b32 s0, s4
	s_cbranch_execz .LBB32_50
.LBB32_66:
	s_waitcnt lgkmcnt(13)
	v_add_co_u32 v28, vcc_lo, 0x1000, v2
	v_add_co_ci_u32_e32 v29, vcc_lo, 0, v3, vcc_lo
	s_waitcnt lgkmcnt(12)
	global_store_b64 v[28:29], v[26:27], off offset:2048
	s_or_b32 exec_lo, exec_lo, s0
	s_and_saveexec_b32 s0, s5
	s_cbranch_execz .LBB32_51
.LBB32_67:
	s_waitcnt lgkmcnt(12)
	v_add_co_u32 v26, vcc_lo, 0x2000, v2
	v_add_co_ci_u32_e32 v27, vcc_lo, 0, v3, vcc_lo
	s_waitcnt lgkmcnt(11)
	global_store_b64 v[26:27], v[24:25], off
	s_or_b32 exec_lo, exec_lo, s0
	s_and_saveexec_b32 s0, s6
	s_cbranch_execz .LBB32_52
.LBB32_68:
	s_waitcnt lgkmcnt(11)
	v_add_co_u32 v24, vcc_lo, 0x2000, v2
	v_add_co_ci_u32_e32 v25, vcc_lo, 0, v3, vcc_lo
	s_waitcnt lgkmcnt(10)
	global_store_b64 v[24:25], v[22:23], off offset:2048
	s_or_b32 exec_lo, exec_lo, s0
	s_and_saveexec_b32 s0, s7
	s_cbranch_execz .LBB32_53
.LBB32_69:
	s_waitcnt lgkmcnt(10)
	v_add_co_u32 v22, vcc_lo, 0x3000, v2
	v_add_co_ci_u32_e32 v23, vcc_lo, 0, v3, vcc_lo
	s_waitcnt lgkmcnt(9)
	global_store_b64 v[22:23], v[20:21], off
	s_or_b32 exec_lo, exec_lo, s0
	s_and_saveexec_b32 s0, s8
	s_cbranch_execz .LBB32_54
.LBB32_70:
	s_waitcnt lgkmcnt(9)
	v_add_co_u32 v20, vcc_lo, 0x3000, v2
	v_add_co_ci_u32_e32 v21, vcc_lo, 0, v3, vcc_lo
	s_waitcnt lgkmcnt(8)
	global_store_b64 v[20:21], v[18:19], off offset:2048
	s_or_b32 exec_lo, exec_lo, s0
	s_and_saveexec_b32 s0, s9
	s_cbranch_execz .LBB32_55
.LBB32_71:
	s_waitcnt lgkmcnt(8)
	v_add_co_u32 v18, vcc_lo, 0x4000, v2
	v_add_co_ci_u32_e32 v19, vcc_lo, 0, v3, vcc_lo
	s_waitcnt lgkmcnt(7)
	global_store_b64 v[18:19], v[16:17], off
	s_or_b32 exec_lo, exec_lo, s0
	s_and_saveexec_b32 s0, s10
	s_cbranch_execz .LBB32_56
.LBB32_72:
	s_waitcnt lgkmcnt(7)
	v_add_co_u32 v16, vcc_lo, 0x4000, v2
	v_add_co_ci_u32_e32 v17, vcc_lo, 0, v3, vcc_lo
	s_waitcnt lgkmcnt(6)
	global_store_b64 v[16:17], v[14:15], off offset:2048
	s_or_b32 exec_lo, exec_lo, s0
	s_and_saveexec_b32 s0, s11
	s_cbranch_execz .LBB32_57
.LBB32_73:
	s_waitcnt lgkmcnt(6)
	v_add_co_u32 v14, vcc_lo, 0x5000, v2
	v_add_co_ci_u32_e32 v15, vcc_lo, 0, v3, vcc_lo
	s_waitcnt lgkmcnt(5)
	global_store_b64 v[14:15], v[12:13], off
	s_or_b32 exec_lo, exec_lo, s0
	s_and_saveexec_b32 s0, s12
	s_cbranch_execz .LBB32_58
.LBB32_74:
	s_waitcnt lgkmcnt(5)
	v_add_co_u32 v12, vcc_lo, 0x5000, v2
	v_add_co_ci_u32_e32 v13, vcc_lo, 0, v3, vcc_lo
	s_waitcnt lgkmcnt(4)
	global_store_b64 v[12:13], v[10:11], off offset:2048
	s_or_b32 exec_lo, exec_lo, s0
	s_and_saveexec_b32 s0, s13
	s_cbranch_execz .LBB32_59
.LBB32_75:
	s_waitcnt lgkmcnt(4)
	v_add_co_u32 v10, vcc_lo, 0x6000, v2
	v_add_co_ci_u32_e32 v11, vcc_lo, 0, v3, vcc_lo
	s_waitcnt lgkmcnt(3)
	global_store_b64 v[10:11], v[8:9], off
	s_or_b32 exec_lo, exec_lo, s0
	s_and_saveexec_b32 s0, s14
	s_cbranch_execz .LBB32_60
.LBB32_76:
	s_waitcnt lgkmcnt(3)
	v_add_co_u32 v8, vcc_lo, 0x6000, v2
	v_add_co_ci_u32_e32 v9, vcc_lo, 0, v3, vcc_lo
	s_waitcnt lgkmcnt(2)
	global_store_b64 v[8:9], v[6:7], off offset:2048
	s_or_b32 exec_lo, exec_lo, s0
	s_and_saveexec_b32 s0, s15
	s_cbranch_execz .LBB32_61
.LBB32_77:
	s_waitcnt lgkmcnt(2)
	v_add_co_u32 v6, vcc_lo, 0x7000, v2
	v_add_co_ci_u32_e32 v7, vcc_lo, 0, v3, vcc_lo
	s_waitcnt lgkmcnt(1)
	global_store_b64 v[6:7], v[4:5], off
	s_or_b32 exec_lo, exec_lo, s0
	s_and_saveexec_b32 s0, s16
	s_cbranch_execz .LBB32_62
.LBB32_78:
	v_add_co_u32 v2, vcc_lo, 0x7000, v2
	v_add_co_ci_u32_e32 v3, vcc_lo, 0, v3, vcc_lo
	s_waitcnt lgkmcnt(0)
	global_store_b64 v[2:3], v[0:1], off offset:2048
	s_nop 0
	s_sendmsg sendmsg(MSG_DEALLOC_VGPRS)
	s_endpgm
	.section	.rodata,"a",@progbits
	.p2align	6, 0x0
	.amdhsa_kernel _ZN7rocprim17ROCPRIM_304000_NS6detail18single_scan_kernelILb0ENS1_19wrapped_scan_configINS0_14default_configElEEPKlPlSt10multipliesIlEllEEvT1_mT4_T2_T3_
		.amdhsa_group_segment_fixed_size 33792
		.amdhsa_private_segment_fixed_size 0
		.amdhsa_kernarg_size 36
		.amdhsa_user_sgpr_count 15
		.amdhsa_user_sgpr_dispatch_ptr 0
		.amdhsa_user_sgpr_queue_ptr 0
		.amdhsa_user_sgpr_kernarg_segment_ptr 1
		.amdhsa_user_sgpr_dispatch_id 0
		.amdhsa_user_sgpr_private_segment_size 0
		.amdhsa_wavefront_size32 1
		.amdhsa_uses_dynamic_stack 0
		.amdhsa_enable_private_segment 0
		.amdhsa_system_sgpr_workgroup_id_x 1
		.amdhsa_system_sgpr_workgroup_id_y 0
		.amdhsa_system_sgpr_workgroup_id_z 0
		.amdhsa_system_sgpr_workgroup_info 0
		.amdhsa_system_vgpr_workitem_id 0
		.amdhsa_next_free_vgpr 78
		.amdhsa_next_free_sgpr 68
		.amdhsa_reserve_vcc 1
		.amdhsa_float_round_mode_32 0
		.amdhsa_float_round_mode_16_64 0
		.amdhsa_float_denorm_mode_32 3
		.amdhsa_float_denorm_mode_16_64 3
		.amdhsa_dx10_clamp 1
		.amdhsa_ieee_mode 1
		.amdhsa_fp16_overflow 0
		.amdhsa_workgroup_processor_mode 1
		.amdhsa_memory_ordered 1
		.amdhsa_forward_progress 0
		.amdhsa_shared_vgpr_count 0
		.amdhsa_exception_fp_ieee_invalid_op 0
		.amdhsa_exception_fp_denorm_src 0
		.amdhsa_exception_fp_ieee_div_zero 0
		.amdhsa_exception_fp_ieee_overflow 0
		.amdhsa_exception_fp_ieee_underflow 0
		.amdhsa_exception_fp_ieee_inexact 0
		.amdhsa_exception_int_div_zero 0
	.end_amdhsa_kernel
	.section	.text._ZN7rocprim17ROCPRIM_304000_NS6detail18single_scan_kernelILb0ENS1_19wrapped_scan_configINS0_14default_configElEEPKlPlSt10multipliesIlEllEEvT1_mT4_T2_T3_,"axG",@progbits,_ZN7rocprim17ROCPRIM_304000_NS6detail18single_scan_kernelILb0ENS1_19wrapped_scan_configINS0_14default_configElEEPKlPlSt10multipliesIlEllEEvT1_mT4_T2_T3_,comdat
.Lfunc_end32:
	.size	_ZN7rocprim17ROCPRIM_304000_NS6detail18single_scan_kernelILb0ENS1_19wrapped_scan_configINS0_14default_configElEEPKlPlSt10multipliesIlEllEEvT1_mT4_T2_T3_, .Lfunc_end32-_ZN7rocprim17ROCPRIM_304000_NS6detail18single_scan_kernelILb0ENS1_19wrapped_scan_configINS0_14default_configElEEPKlPlSt10multipliesIlEllEEvT1_mT4_T2_T3_
                                        ; -- End function
	.section	.AMDGPU.csdata,"",@progbits
; Kernel info:
; codeLenInByte = 5448
; NumSgprs: 70
; NumVgprs: 78
; ScratchSize: 0
; MemoryBound: 1
; FloatMode: 240
; IeeeMode: 1
; LDSByteSize: 33792 bytes/workgroup (compile time only)
; SGPRBlocks: 8
; VGPRBlocks: 9
; NumSGPRsForWavesPerEU: 70
; NumVGPRsForWavesPerEU: 78
; Occupancy: 6
; WaveLimiterHint : 0
; COMPUTE_PGM_RSRC2:SCRATCH_EN: 0
; COMPUTE_PGM_RSRC2:USER_SGPR: 15
; COMPUTE_PGM_RSRC2:TRAP_HANDLER: 0
; COMPUTE_PGM_RSRC2:TGID_X_EN: 1
; COMPUTE_PGM_RSRC2:TGID_Y_EN: 0
; COMPUTE_PGM_RSRC2:TGID_Z_EN: 0
; COMPUTE_PGM_RSRC2:TIDIG_COMP_CNT: 0
	.section	.text._ZN2at6native32tensor_kernel_scan_innermost_dimIlSt10multipliesIlEEEvPT_PKS4_jjjS4_T0_,"axG",@progbits,_ZN2at6native32tensor_kernel_scan_innermost_dimIlSt10multipliesIlEEEvPT_PKS4_jjjS4_T0_,comdat
	.protected	_ZN2at6native32tensor_kernel_scan_innermost_dimIlSt10multipliesIlEEEvPT_PKS4_jjjS4_T0_ ; -- Begin function _ZN2at6native32tensor_kernel_scan_innermost_dimIlSt10multipliesIlEEEvPT_PKS4_jjjS4_T0_
	.globl	_ZN2at6native32tensor_kernel_scan_innermost_dimIlSt10multipliesIlEEEvPT_PKS4_jjjS4_T0_
	.p2align	8
	.type	_ZN2at6native32tensor_kernel_scan_innermost_dimIlSt10multipliesIlEEEvPT_PKS4_jjjS4_T0_,@function
_ZN2at6native32tensor_kernel_scan_innermost_dimIlSt10multipliesIlEEEvPT_PKS4_jjjS4_T0_: ; @_ZN2at6native32tensor_kernel_scan_innermost_dimIlSt10multipliesIlEEEvPT_PKS4_jjjS4_T0_
; %bb.0:
	s_clause 0x1
	s_load_b256 s[16:23], s[0:1], 0x0
	s_load_b64 s[6:7], s[0:1], 0x20
	v_bfe_u32 v12, v0, 10, 10
	s_waitcnt lgkmcnt(0)
	s_lshl_b32 s5, 2, s22
	s_mul_hi_u32 s2, s20, s21
	s_delay_alu instid0(VALU_DEP_1) | instskip(SKIP_3) | instid1(VALU_DEP_1)
	v_mul_lo_u32 v1, s5, v12
	s_mov_b32 s8, s20
	s_cmp_lg_u32 s2, 0
	s_mov_b32 s2, -1
	v_lshl_add_u32 v13, v1, 3, 0
	s_cbranch_scc1 .LBB33_26
; %bb.1:
	s_load_b32 s4, s[0:1], 0x3c
	s_add_u32 s2, s0, 48
	s_addc_u32 s3, s1, 0
	s_waitcnt lgkmcnt(0)
	s_lshr_b32 s4, s4, 16
	s_delay_alu instid0(SALU_CYCLE_1) | instskip(NEXT) | instid1(SALU_CYCLE_1)
	s_mul_i32 s9, s15, s4
	s_cmp_ge_u32 s9, s20
	s_cbranch_scc1 .LBB33_25
; %bb.2:
	s_load_b32 s12, s[2:3], 0x0
	v_dual_mov_b32 v2, 0 :: v_dual_and_b32 v11, 0x3ff, v0
	v_add_nc_u32_e32 v14, -8, v13
	s_lshl_b32 s10, 1, s22
	s_cmp_lg_u32 s21, 0
	s_delay_alu instid0(VALU_DEP_2)
	v_lshl_add_u32 v15, v11, 3, v13
	v_cmp_eq_u32_e64 s2, 0, v11
	v_lshl_add_u32 v16, s5, 3, v14
	s_cselect_b32 s11, -1, 0
	s_add_i32 s13, s22, 1
	v_lshl_add_u32 v17, s10, 3, v15
	s_waitcnt lgkmcnt(0)
	s_mul_i32 s12, s12, s4
	s_branch .LBB33_4
.LBB33_3:                               ;   in Loop: Header=BB33_4 Depth=1
	s_add_i32 s9, s9, s12
	s_delay_alu instid0(SALU_CYCLE_1)
	s_cmp_ge_u32 s9, s20
	s_cbranch_scc1 .LBB33_25
.LBB33_4:                               ; =>This Loop Header: Depth=1
                                        ;     Child Loop BB33_7 Depth 2
                                        ;       Child Loop BB33_16 Depth 3
	s_and_not1_b32 vcc_lo, exec_lo, s11
	s_cbranch_vccnz .LBB33_3
; %bb.5:                                ;   in Loop: Header=BB33_4 Depth=1
	v_add_nc_u32_e32 v5, s9, v12
	s_mov_b32 s14, 0
	s_delay_alu instid0(VALU_DEP_1) | instskip(SKIP_3) | instid1(VALU_DEP_4)
	v_mul_lo_u32 v1, v5, s21
	v_cmp_gt_u32_e32 vcc_lo, s20, v5
	v_cmp_le_u32_e64 s3, s20, v5
	v_dual_mov_b32 v5, s6 :: v_dual_mov_b32 v6, s7
	v_lshlrev_b64 v[3:4], 3, v[1:2]
	s_delay_alu instid0(VALU_DEP_1) | instskip(NEXT) | instid1(VALU_DEP_1)
	v_add_co_u32 v18, s4, s18, v3
	v_add_co_ci_u32_e64 v19, s4, s19, v4, s4
	v_add_co_u32 v20, s4, s16, v3
	s_delay_alu instid0(VALU_DEP_1)
	v_add_co_ci_u32_e64 v21, s4, s17, v4, s4
	s_branch .LBB33_7
.LBB33_6:                               ;   in Loop: Header=BB33_7 Depth=2
	s_or_b32 exec_lo, exec_lo, s23
	ds_load_b64 v[5:6], v16
	s_add_i32 s14, s14, s5
	s_waitcnt lgkmcnt(0)
	s_waitcnt_vscnt null, 0x0
	s_cmp_ge_u32 s14, s21
	s_barrier
	buffer_gl0_inv
	s_cbranch_scc1 .LBB33_3
.LBB33_7:                               ;   Parent Loop BB33_4 Depth=1
                                        ; =>  This Loop Header: Depth=2
                                        ;       Child Loop BB33_16 Depth 3
	v_add_nc_u32_e32 v1, s14, v11
	s_delay_alu instid0(VALU_DEP_1)
	v_add_nc_u32_e32 v3, s10, v1
	s_and_saveexec_b32 s23, vcc_lo
	s_cbranch_execz .LBB33_14
; %bb.8:                                ;   in Loop: Header=BB33_7 Depth=2
	v_dual_mov_b32 v8, s7 :: v_dual_mov_b32 v7, s6
	s_mov_b32 s24, exec_lo
	v_cmpx_gt_u32_e64 s21, v1
	s_cbranch_execz .LBB33_10
; %bb.9:                                ;   in Loop: Header=BB33_7 Depth=2
	v_lshlrev_b64 v[7:8], 3, v[1:2]
	s_delay_alu instid0(VALU_DEP_1) | instskip(NEXT) | instid1(VALU_DEP_1)
	v_add_co_u32 v7, s4, v18, v7
	v_add_co_ci_u32_e64 v8, s4, v19, v8, s4
	global_load_b64 v[7:8], v[7:8], off
.LBB33_10:                              ;   in Loop: Header=BB33_7 Depth=2
	s_or_b32 exec_lo, exec_lo, s24
	v_dual_mov_b32 v10, s7 :: v_dual_mov_b32 v9, s6
	s_mov_b32 s24, exec_lo
	s_waitcnt vmcnt(0)
	ds_store_b64 v15, v[7:8]
	v_cmpx_gt_u32_e64 s21, v3
	s_cbranch_execz .LBB33_12
; %bb.11:                               ;   in Loop: Header=BB33_7 Depth=2
	v_mov_b32_e32 v4, v2
	s_delay_alu instid0(VALU_DEP_1) | instskip(NEXT) | instid1(VALU_DEP_1)
	v_lshlrev_b64 v[7:8], 3, v[3:4]
	v_add_co_u32 v7, s4, v18, v7
	s_delay_alu instid0(VALU_DEP_1)
	v_add_co_ci_u32_e64 v8, s4, v19, v8, s4
	global_load_b64 v[9:10], v[7:8], off
.LBB33_12:                              ;   in Loop: Header=BB33_7 Depth=2
	s_or_b32 exec_lo, exec_lo, s24
	s_waitcnt vmcnt(0)
	ds_store_b64 v17, v[9:10]
	s_and_b32 exec_lo, exec_lo, s2
	s_cbranch_execz .LBB33_14
; %bb.13:                               ;   in Loop: Header=BB33_7 Depth=2
	ds_load_b64 v[7:8], v13
	s_waitcnt lgkmcnt(0)
	v_mul_lo_u32 v4, v8, v5
	v_mul_lo_u32 v6, v7, v6
	v_mad_u64_u32 v[8:9], null, v7, v5, 0
	s_delay_alu instid0(VALU_DEP_1)
	v_add3_u32 v9, v9, v6, v4
	ds_store_b64 v13, v[8:9]
.LBB33_14:                              ;   in Loop: Header=BB33_7 Depth=2
	s_or_b32 exec_lo, exec_lo, s23
	v_mov_b32_e32 v4, 0
	s_mov_b32 s23, 0
	s_waitcnt lgkmcnt(0)
	s_barrier
	buffer_gl0_inv
	s_set_inst_prefetch_distance 0x1
	s_branch .LBB33_16
	.p2align	6
.LBB33_15:                              ;   in Loop: Header=BB33_16 Depth=3
	s_or_b32 exec_lo, exec_lo, s4
	s_delay_alu instid0(VALU_DEP_1) | instskip(SKIP_4) | instid1(SALU_CYCLE_1)
	v_cmp_eq_u32_e64 s4, s13, v4
	s_waitcnt lgkmcnt(0)
	s_barrier
	buffer_gl0_inv
	s_or_b32 s23, s4, s23
	s_and_not1_b32 exec_lo, exec_lo, s23
	s_cbranch_execz .LBB33_20
.LBB33_16:                              ;   Parent Loop BB33_4 Depth=1
                                        ;     Parent Loop BB33_7 Depth=2
                                        ; =>    This Inner Loop Header: Depth=3
	v_add_nc_u32_e32 v5, 1, v4
	s_and_saveexec_b32 s4, s3
	s_delay_alu instid0(SALU_CYCLE_1)
	s_xor_b32 s4, exec_lo, s4
; %bb.17:                               ;   in Loop: Header=BB33_16 Depth=3
	v_add_nc_u32_e32 v4, 1, v4
                                        ; implicit-def: $vgpr5
; %bb.18:                               ;   in Loop: Header=BB33_16 Depth=3
	s_and_not1_saveexec_b32 s4, s4
	s_cbranch_execz .LBB33_15
; %bb.19:                               ;   in Loop: Header=BB33_16 Depth=3
	s_delay_alu instid0(VALU_DEP_1) | instskip(SKIP_2) | instid1(VALU_DEP_2)
	v_lshlrev_b32_e64 v6, v4, 1
	v_lshrrev_b32_e32 v7, v4, v11
	v_bfm_b32 v4, v4, 0
	v_lshl_or_b32 v6, v7, v5, v6
	s_delay_alu instid0(VALU_DEP_2) | instskip(NEXT) | instid1(VALU_DEP_2)
	v_and_b32_e32 v4, v4, v11
	v_lshlrev_b32_e32 v6, 3, v6
	s_delay_alu instid0(VALU_DEP_2) | instskip(NEXT) | instid1(VALU_DEP_1)
	v_lshlrev_b32_e32 v4, 3, v4
	v_add3_u32 v22, v13, v6, v4
	v_add_nc_u32_e32 v4, v14, v6
	ds_load_b64 v[6:7], v22
	ds_load_b64 v[8:9], v4
	s_waitcnt lgkmcnt(0)
	v_mul_lo_u32 v4, v9, v6
	v_mul_lo_u32 v7, v8, v7
	v_mad_u64_u32 v[9:10], null, v8, v6, 0
	s_delay_alu instid0(VALU_DEP_1)
	v_add3_u32 v10, v10, v7, v4
	v_mov_b32_e32 v4, v5
	ds_store_b64 v22, v[9:10]
	s_branch .LBB33_15
.LBB33_20:                              ;   in Loop: Header=BB33_7 Depth=2
	s_set_inst_prefetch_distance 0x2
	s_or_b32 exec_lo, exec_lo, s23
	s_and_saveexec_b32 s23, vcc_lo
	s_cbranch_execz .LBB33_6
; %bb.21:                               ;   in Loop: Header=BB33_7 Depth=2
	s_mov_b32 s24, exec_lo
	v_cmpx_gt_u32_e64 s21, v1
	s_cbranch_execz .LBB33_23
; %bb.22:                               ;   in Loop: Header=BB33_7 Depth=2
	ds_load_b64 v[4:5], v15
	v_lshlrev_b64 v[6:7], 3, v[1:2]
	s_delay_alu instid0(VALU_DEP_1) | instskip(NEXT) | instid1(VALU_DEP_1)
	v_add_co_u32 v6, s4, v20, v6
	v_add_co_ci_u32_e64 v7, s4, v21, v7, s4
	s_waitcnt lgkmcnt(0)
	global_store_b64 v[6:7], v[4:5], off
.LBB33_23:                              ;   in Loop: Header=BB33_7 Depth=2
	s_or_b32 exec_lo, exec_lo, s24
	v_cmp_gt_u32_e64 s4, s21, v3
	s_delay_alu instid0(VALU_DEP_1)
	s_and_b32 exec_lo, exec_lo, s4
	s_cbranch_execz .LBB33_6
; %bb.24:                               ;   in Loop: Header=BB33_7 Depth=2
	ds_load_b64 v[5:6], v17
	v_mov_b32_e32 v4, v2
	s_delay_alu instid0(VALU_DEP_1) | instskip(NEXT) | instid1(VALU_DEP_1)
	v_lshlrev_b64 v[3:4], 3, v[3:4]
	v_add_co_u32 v3, s4, v20, v3
	s_delay_alu instid0(VALU_DEP_1)
	v_add_co_ci_u32_e64 v4, s4, v21, v4, s4
	s_waitcnt lgkmcnt(0)
	global_store_b64 v[3:4], v[5:6], off
	s_branch .LBB33_6
.LBB33_25:
	s_mov_b32 s2, 0
.LBB33_26:
	s_delay_alu instid0(SALU_CYCLE_1)
	s_and_not1_b32 vcc_lo, exec_lo, s2
	s_cbranch_vccnz .LBB33_53
; %bb.27:
	s_load_b32 s2, s[0:1], 0x3c
	s_add_u32 s0, s0, 48
	s_addc_u32 s1, s1, 0
	s_mov_b32 s9, 0
	s_waitcnt lgkmcnt(0)
	s_lshr_b32 s2, s2, 16
	s_delay_alu instid0(SALU_CYCLE_1) | instskip(SKIP_1) | instid1(SALU_CYCLE_1)
	s_mul_hi_u32 s5, s2, s15
	s_mul_i32 s4, s2, s15
	v_cmp_ge_u64_e64 s3, s[4:5], s[8:9]
	s_delay_alu instid0(VALU_DEP_1)
	s_and_b32 vcc_lo, exec_lo, s3
	s_cbranch_vccnz .LBB33_53
; %bb.28:
	s_load_b32 s1, s[0:1], 0x0
	v_dual_mov_b32 v1, 0 :: v_dual_and_b32 v0, 0x3ff, v0
	s_lshl_b32 s10, 1, s22
	s_and_b32 s2, 0xffff, s2
	s_ashr_i32 s11, s10, 31
	s_cmp_lg_u32 s21, 0
	v_lshl_add_u32 v14, v0, 3, v13
	s_cselect_b32 s3, -1, 0
	s_lshl_b64 s[14:15], s[10:11], 1
	v_cmp_eq_u32_e64 s0, 0, v0
	s_lshl_b32 s13, s14, 3
	v_lshl_add_u32 v16, s10, 3, v14
	v_add3_u32 v15, v13, s13, -8
	s_mov_b32 s12, s21
	s_mov_b32 s13, s9
	s_add_i32 s22, s22, 1
	s_waitcnt lgkmcnt(0)
	s_mul_i32 s23, s1, s2
	s_branch .LBB33_30
.LBB33_29:                              ;   in Loop: Header=BB33_30 Depth=1
	s_add_u32 s4, s4, s23
	s_addc_u32 s5, s5, 0
	s_delay_alu instid0(SALU_CYCLE_1) | instskip(NEXT) | instid1(VALU_DEP_1)
	v_cmp_ge_u64_e64 s1, s[4:5], s[8:9]
	s_and_b32 vcc_lo, exec_lo, s1
	s_cbranch_vccnz .LBB33_53
.LBB33_30:                              ; =>This Loop Header: Depth=1
                                        ;     Child Loop BB33_33 Depth 2
                                        ;       Child Loop BB33_43 Depth 3
	s_and_not1_b32 vcc_lo, exec_lo, s3
	s_cbranch_vccnz .LBB33_29
; %bb.31:                               ;   in Loop: Header=BB33_30 Depth=1
	v_add_co_u32 v2, s1, s4, v12
	s_delay_alu instid0(VALU_DEP_1) | instskip(SKIP_1) | instid1(VALU_DEP_2)
	v_add_co_ci_u32_e64 v3, null, s5, 0, s1
	s_mov_b64 s[20:21], 0
	v_mad_u64_u32 v[4:5], null, v2, s12, 0
	s_delay_alu instid0(VALU_DEP_2) | instskip(SKIP_1) | instid1(VALU_DEP_3)
	v_cmp_gt_u64_e64 s1, s[8:9], v[2:3]
	v_cmp_le_u64_e64 s2, s[8:9], v[2:3]
	v_mad_u64_u32 v[6:7], null, v3, s12, v[5:6]
	s_delay_alu instid0(VALU_DEP_1) | instskip(SKIP_1) | instid1(VALU_DEP_2)
	v_dual_mov_b32 v5, v6 :: v_dual_mov_b32 v6, s6
	v_mov_b32_e32 v7, s7
	v_lshlrev_b64 v[4:5], 3, v[4:5]
	s_delay_alu instid0(VALU_DEP_1) | instskip(NEXT) | instid1(VALU_DEP_2)
	v_add_co_u32 v17, vcc_lo, s18, v4
	v_add_co_ci_u32_e32 v18, vcc_lo, s19, v5, vcc_lo
	v_add_co_u32 v19, vcc_lo, s16, v4
	v_add_co_ci_u32_e32 v20, vcc_lo, s17, v5, vcc_lo
	s_branch .LBB33_33
.LBB33_32:                              ;   in Loop: Header=BB33_33 Depth=2
	s_or_b32 exec_lo, exec_lo, s24
	ds_load_b64 v[6:7], v15
	s_add_u32 s20, s20, s14
	s_addc_u32 s21, s21, s15
	s_waitcnt lgkmcnt(0)
	s_waitcnt_vscnt null, 0x0
	v_cmp_ge_u64_e64 s24, s[20:21], s[12:13]
	s_barrier
	buffer_gl0_inv
	s_and_b32 vcc_lo, exec_lo, s24
	s_cbranch_vccnz .LBB33_29
.LBB33_33:                              ;   Parent Loop BB33_30 Depth=1
                                        ; =>  This Loop Header: Depth=2
                                        ;       Child Loop BB33_43 Depth 3
	v_add_co_u32 v4, s24, s20, v0
	s_delay_alu instid0(VALU_DEP_1) | instskip(NEXT) | instid1(VALU_DEP_2)
	v_add_co_ci_u32_e64 v5, null, s21, 0, s24
	v_add_co_u32 v2, vcc_lo, v4, s10
	s_delay_alu instid0(VALU_DEP_2)
	v_add_co_ci_u32_e32 v3, vcc_lo, s11, v5, vcc_lo
	s_and_saveexec_b32 s24, s1
	s_cbranch_execz .LBB33_40
; %bb.34:                               ;   in Loop: Header=BB33_33 Depth=2
	v_dual_mov_b32 v9, s7 :: v_dual_mov_b32 v8, s6
	s_mov_b32 s25, exec_lo
	v_cmpx_gt_u64_e64 s[12:13], v[4:5]
	s_cbranch_execz .LBB33_36
; %bb.35:                               ;   in Loop: Header=BB33_33 Depth=2
	v_lshlrev_b64 v[8:9], 3, v[4:5]
	s_delay_alu instid0(VALU_DEP_1) | instskip(NEXT) | instid1(VALU_DEP_2)
	v_add_co_u32 v8, vcc_lo, v17, v8
	v_add_co_ci_u32_e32 v9, vcc_lo, v18, v9, vcc_lo
	global_load_b64 v[8:9], v[8:9], off
.LBB33_36:                              ;   in Loop: Header=BB33_33 Depth=2
	s_or_b32 exec_lo, exec_lo, s25
	v_dual_mov_b32 v11, s7 :: v_dual_mov_b32 v10, s6
	s_mov_b32 s25, exec_lo
	s_waitcnt vmcnt(0)
	ds_store_b64 v14, v[8:9]
	v_cmpx_gt_u64_e64 s[12:13], v[2:3]
	s_cbranch_execz .LBB33_38
; %bb.37:                               ;   in Loop: Header=BB33_33 Depth=2
	v_lshlrev_b64 v[8:9], 3, v[2:3]
	s_delay_alu instid0(VALU_DEP_1) | instskip(NEXT) | instid1(VALU_DEP_2)
	v_add_co_u32 v8, vcc_lo, v17, v8
	v_add_co_ci_u32_e32 v9, vcc_lo, v18, v9, vcc_lo
	global_load_b64 v[10:11], v[8:9], off
.LBB33_38:                              ;   in Loop: Header=BB33_33 Depth=2
	s_or_b32 exec_lo, exec_lo, s25
	s_waitcnt vmcnt(0)
	ds_store_b64 v16, v[10:11]
	s_and_b32 exec_lo, exec_lo, s0
	s_cbranch_execz .LBB33_40
; %bb.39:                               ;   in Loop: Header=BB33_33 Depth=2
	ds_load_b64 v[8:9], v13
	s_waitcnt lgkmcnt(0)
	v_mul_lo_u32 v11, v9, v6
	v_mul_lo_u32 v7, v8, v7
	v_mad_u64_u32 v[9:10], null, v8, v6, 0
	s_delay_alu instid0(VALU_DEP_1)
	v_add3_u32 v10, v10, v7, v11
	ds_store_b64 v13, v[9:10]
.LBB33_40:                              ;   in Loop: Header=BB33_33 Depth=2
	s_or_b32 exec_lo, exec_lo, s24
	v_mov_b32_e32 v10, 0
	s_mov_b32 s24, 0
	s_waitcnt lgkmcnt(0)
	s_barrier
	buffer_gl0_inv
	s_branch .LBB33_43
.LBB33_41:                              ;   in Loop: Header=BB33_43 Depth=3
	s_or_b32 exec_lo, exec_lo, s26
	v_lshrrev_b32_e32 v8, v10, v0
	s_delay_alu instid0(VALU_DEP_1) | instskip(NEXT) | instid1(VALU_DEP_1)
	v_lshl_or_b32 v6, v8, v9, v6
	v_lshl_add_u32 v6, v6, 3, v13
	s_delay_alu instid0(VALU_DEP_1)
	v_lshl_add_u32 v21, v7, 3, v6
	v_add_nc_u32_e32 v8, -8, v6
	ds_load_b64 v[6:7], v21
	ds_load_b64 v[10:11], v8
	s_waitcnt lgkmcnt(0)
	v_mul_lo_u32 v11, v11, v6
	v_mul_lo_u32 v22, v10, v7
	v_mad_u64_u32 v[7:8], null, v10, v6, 0
	s_delay_alu instid0(VALU_DEP_1)
	v_add3_u32 v8, v8, v22, v11
	ds_store_b64 v21, v[7:8]
.LBB33_42:                              ;   in Loop: Header=BB33_43 Depth=3
	s_or_b32 exec_lo, exec_lo, s25
	s_delay_alu instid0(VALU_DEP_1)
	v_cmp_eq_u32_e32 vcc_lo, s22, v9
	v_mov_b32_e32 v10, v9
	s_waitcnt lgkmcnt(0)
	s_barrier
	buffer_gl0_inv
	s_or_b32 s24, vcc_lo, s24
	s_delay_alu instid0(SALU_CYCLE_1)
	s_and_not1_b32 exec_lo, exec_lo, s24
	s_cbranch_execz .LBB33_48
.LBB33_43:                              ;   Parent Loop BB33_30 Depth=1
                                        ;     Parent Loop BB33_33 Depth=2
                                        ; =>    This Inner Loop Header: Depth=3
	v_add_nc_u32_e32 v9, 1, v10
	s_and_saveexec_b32 s25, s2
	s_delay_alu instid0(SALU_CYCLE_1)
	s_xor_b32 s25, exec_lo, s25
; %bb.44:                               ;   in Loop: Header=BB33_43 Depth=3
	v_add_nc_u32_e32 v9, 1, v10
                                        ; implicit-def: $vgpr10
; %bb.45:                               ;   in Loop: Header=BB33_43 Depth=3
	s_and_not1_saveexec_b32 s25, s25
	s_cbranch_execz .LBB33_42
; %bb.46:                               ;   in Loop: Header=BB33_43 Depth=3
	v_lshlrev_b32_e64 v6, v10, 1
	s_delay_alu instid0(VALU_DEP_1) | instskip(NEXT) | instid1(VALU_DEP_1)
	v_ashrrev_i32_e32 v7, 31, v6
	v_cmp_ge_u64_e32 vcc_lo, v[0:1], v[6:7]
	v_dual_mov_b32 v8, v1 :: v_dual_mov_b32 v7, v0
	s_and_saveexec_b32 s26, vcc_lo
	s_cbranch_execz .LBB33_41
; %bb.47:                               ;   in Loop: Header=BB33_43 Depth=3
	v_cvt_f32_u32_e32 v7, v6
	v_sub_nc_u32_e32 v8, 0, v6
	s_delay_alu instid0(VALU_DEP_2) | instskip(SKIP_2) | instid1(VALU_DEP_1)
	v_rcp_iflag_f32_e32 v7, v7
	s_waitcnt_depctr 0xfff
	v_mul_f32_e32 v7, 0x4f7ffffe, v7
	v_cvt_u32_f32_e32 v7, v7
	s_delay_alu instid0(VALU_DEP_1) | instskip(NEXT) | instid1(VALU_DEP_1)
	v_mul_lo_u32 v8, v8, v7
	v_mul_hi_u32 v8, v7, v8
	s_delay_alu instid0(VALU_DEP_1) | instskip(NEXT) | instid1(VALU_DEP_1)
	v_add_nc_u32_e32 v7, v7, v8
	v_mul_hi_u32 v7, v0, v7
	s_delay_alu instid0(VALU_DEP_1) | instskip(NEXT) | instid1(VALU_DEP_1)
	v_mul_lo_u32 v7, v7, v6
	v_sub_nc_u32_e32 v7, v0, v7
	s_delay_alu instid0(VALU_DEP_1) | instskip(SKIP_1) | instid1(VALU_DEP_2)
	v_sub_nc_u32_e32 v8, v7, v6
	v_cmp_ge_u32_e32 vcc_lo, v7, v6
	v_cndmask_b32_e32 v7, v7, v8, vcc_lo
	s_delay_alu instid0(VALU_DEP_1) | instskip(SKIP_1) | instid1(VALU_DEP_2)
	v_sub_nc_u32_e32 v8, v7, v6
	v_cmp_ge_u32_e32 vcc_lo, v7, v6
	v_cndmask_b32_e32 v7, v7, v8, vcc_lo
	s_branch .LBB33_41
.LBB33_48:                              ;   in Loop: Header=BB33_33 Depth=2
	s_or_b32 exec_lo, exec_lo, s24
	s_and_saveexec_b32 s24, s1
	s_cbranch_execz .LBB33_32
; %bb.49:                               ;   in Loop: Header=BB33_33 Depth=2
	s_mov_b32 s25, exec_lo
	v_cmpx_gt_u64_e64 s[12:13], v[4:5]
	s_cbranch_execz .LBB33_51
; %bb.50:                               ;   in Loop: Header=BB33_33 Depth=2
	ds_load_b64 v[6:7], v14
	v_lshlrev_b64 v[4:5], 3, v[4:5]
	s_delay_alu instid0(VALU_DEP_1) | instskip(NEXT) | instid1(VALU_DEP_2)
	v_add_co_u32 v4, vcc_lo, v19, v4
	v_add_co_ci_u32_e32 v5, vcc_lo, v20, v5, vcc_lo
	s_waitcnt lgkmcnt(0)
	global_store_b64 v[4:5], v[6:7], off
.LBB33_51:                              ;   in Loop: Header=BB33_33 Depth=2
	s_or_b32 exec_lo, exec_lo, s25
	v_cmp_gt_u64_e32 vcc_lo, s[12:13], v[2:3]
	s_and_b32 exec_lo, exec_lo, vcc_lo
	s_cbranch_execz .LBB33_32
; %bb.52:                               ;   in Loop: Header=BB33_33 Depth=2
	ds_load_b64 v[4:5], v16
	v_lshlrev_b64 v[2:3], 3, v[2:3]
	s_delay_alu instid0(VALU_DEP_1) | instskip(NEXT) | instid1(VALU_DEP_2)
	v_add_co_u32 v2, vcc_lo, v19, v2
	v_add_co_ci_u32_e32 v3, vcc_lo, v20, v3, vcc_lo
	s_waitcnt lgkmcnt(0)
	global_store_b64 v[2:3], v[4:5], off
	s_branch .LBB33_32
.LBB33_53:
	s_endpgm
	.section	.rodata,"a",@progbits
	.p2align	6, 0x0
	.amdhsa_kernel _ZN2at6native32tensor_kernel_scan_innermost_dimIlSt10multipliesIlEEEvPT_PKS4_jjjS4_T0_
		.amdhsa_group_segment_fixed_size 0
		.amdhsa_private_segment_fixed_size 0
		.amdhsa_kernarg_size 304
		.amdhsa_user_sgpr_count 15
		.amdhsa_user_sgpr_dispatch_ptr 0
		.amdhsa_user_sgpr_queue_ptr 0
		.amdhsa_user_sgpr_kernarg_segment_ptr 1
		.amdhsa_user_sgpr_dispatch_id 0
		.amdhsa_user_sgpr_private_segment_size 0
		.amdhsa_wavefront_size32 1
		.amdhsa_uses_dynamic_stack 0
		.amdhsa_enable_private_segment 0
		.amdhsa_system_sgpr_workgroup_id_x 1
		.amdhsa_system_sgpr_workgroup_id_y 0
		.amdhsa_system_sgpr_workgroup_id_z 0
		.amdhsa_system_sgpr_workgroup_info 0
		.amdhsa_system_vgpr_workitem_id 1
		.amdhsa_next_free_vgpr 23
		.amdhsa_next_free_sgpr 27
		.amdhsa_reserve_vcc 1
		.amdhsa_float_round_mode_32 0
		.amdhsa_float_round_mode_16_64 0
		.amdhsa_float_denorm_mode_32 3
		.amdhsa_float_denorm_mode_16_64 3
		.amdhsa_dx10_clamp 1
		.amdhsa_ieee_mode 1
		.amdhsa_fp16_overflow 0
		.amdhsa_workgroup_processor_mode 1
		.amdhsa_memory_ordered 1
		.amdhsa_forward_progress 0
		.amdhsa_shared_vgpr_count 0
		.amdhsa_exception_fp_ieee_invalid_op 0
		.amdhsa_exception_fp_denorm_src 0
		.amdhsa_exception_fp_ieee_div_zero 0
		.amdhsa_exception_fp_ieee_overflow 0
		.amdhsa_exception_fp_ieee_underflow 0
		.amdhsa_exception_fp_ieee_inexact 0
		.amdhsa_exception_int_div_zero 0
	.end_amdhsa_kernel
	.section	.text._ZN2at6native32tensor_kernel_scan_innermost_dimIlSt10multipliesIlEEEvPT_PKS4_jjjS4_T0_,"axG",@progbits,_ZN2at6native32tensor_kernel_scan_innermost_dimIlSt10multipliesIlEEEvPT_PKS4_jjjS4_T0_,comdat
.Lfunc_end33:
	.size	_ZN2at6native32tensor_kernel_scan_innermost_dimIlSt10multipliesIlEEEvPT_PKS4_jjjS4_T0_, .Lfunc_end33-_ZN2at6native32tensor_kernel_scan_innermost_dimIlSt10multipliesIlEEEvPT_PKS4_jjjS4_T0_
                                        ; -- End function
	.section	.AMDGPU.csdata,"",@progbits
; Kernel info:
; codeLenInByte = 2172
; NumSgprs: 29
; NumVgprs: 23
; ScratchSize: 0
; MemoryBound: 0
; FloatMode: 240
; IeeeMode: 1
; LDSByteSize: 0 bytes/workgroup (compile time only)
; SGPRBlocks: 3
; VGPRBlocks: 2
; NumSGPRsForWavesPerEU: 29
; NumVGPRsForWavesPerEU: 23
; Occupancy: 16
; WaveLimiterHint : 0
; COMPUTE_PGM_RSRC2:SCRATCH_EN: 0
; COMPUTE_PGM_RSRC2:USER_SGPR: 15
; COMPUTE_PGM_RSRC2:TRAP_HANDLER: 0
; COMPUTE_PGM_RSRC2:TGID_X_EN: 1
; COMPUTE_PGM_RSRC2:TGID_Y_EN: 0
; COMPUTE_PGM_RSRC2:TGID_Z_EN: 0
; COMPUTE_PGM_RSRC2:TIDIG_COMP_CNT: 1
	.section	.text._ZN2at6native28tensor_kernel_scan_outer_dimIljSt10multipliesIlEEEvPT_PKS4_jjjS4_T1_,"axG",@progbits,_ZN2at6native28tensor_kernel_scan_outer_dimIljSt10multipliesIlEEEvPT_PKS4_jjjS4_T1_,comdat
	.protected	_ZN2at6native28tensor_kernel_scan_outer_dimIljSt10multipliesIlEEEvPT_PKS4_jjjS4_T1_ ; -- Begin function _ZN2at6native28tensor_kernel_scan_outer_dimIljSt10multipliesIlEEEvPT_PKS4_jjjS4_T1_
	.globl	_ZN2at6native28tensor_kernel_scan_outer_dimIljSt10multipliesIlEEEvPT_PKS4_jjjS4_T1_
	.p2align	8
	.type	_ZN2at6native28tensor_kernel_scan_outer_dimIljSt10multipliesIlEEEvPT_PKS4_jjjS4_T1_,@function
_ZN2at6native28tensor_kernel_scan_outer_dimIljSt10multipliesIlEEEvPT_PKS4_jjjS4_T1_: ; @_ZN2at6native28tensor_kernel_scan_outer_dimIljSt10multipliesIlEEEvPT_PKS4_jjjS4_T1_
; %bb.0:
	s_load_b128 s[4:7], s[0:1], 0x10
	s_waitcnt lgkmcnt(0)
	s_cmp_ge_u32 s14, s4
	s_cbranch_scc1 .LBB34_9
; %bb.1:
	s_clause 0x3
	s_load_b32 s16, s[0:1], 0x3c
	s_load_b32 s7, s[0:1], 0x30
	s_load_b128 s[8:11], s[0:1], 0x0
	s_load_b64 s[2:3], s[0:1], 0x20
	s_add_u32 s12, s0, 48
	s_addc_u32 s13, s1, 0
	s_mul_i32 s0, s14, s6
	v_mov_b32_e32 v3, 0
	s_mul_i32 s20, s0, s5
	s_mov_b32 s17, 0
	s_waitcnt lgkmcnt(0)
	s_and_b32 s1, s16, 0xffff
	s_mov_b32 s16, s5
	v_mad_u64_u32 v[1:2], null, s15, s1, v[0:1]
	s_cmp_lg_u32 s6, 0
	s_mul_i32 s22, s7, s6
	s_cselect_b32 s15, -1, 0
	s_mul_i32 s22, s22, s5
	s_lshl_b64 s[18:19], s[16:17], 3
	s_mov_b32 s16, s20
	s_delay_alu instid0(VALU_DEP_1)
	v_cmp_gt_u32_e64 s0, s5, v1
	s_branch .LBB34_3
.LBB34_2:                               ;   in Loop: Header=BB34_3 Depth=1
	s_set_inst_prefetch_distance 0x2
	s_or_b32 exec_lo, exec_lo, s23
	s_add_i32 s14, s7, s14
	s_add_i32 s16, s16, s22
	s_cmp_ge_u32 s14, s4
	s_cbranch_scc1 .LBB34_9
.LBB34_3:                               ; =>This Loop Header: Depth=1
                                        ;     Child Loop BB34_6 Depth 2
                                        ;       Child Loop BB34_8 Depth 3
	s_delay_alu instid0(VALU_DEP_1)
	s_and_saveexec_b32 s23, s0
	s_cbranch_execz .LBB34_2
; %bb.4:                                ;   in Loop: Header=BB34_3 Depth=1
	s_load_b32 s24, s[12:13], 0x4
	v_mov_b32_e32 v2, v1
	s_lshl_b64 s[20:21], s[16:17], 3
	s_mov_b32 s25, 0
	s_waitcnt lgkmcnt(0)
	s_mul_i32 s24, s24, s1
	s_set_inst_prefetch_distance 0x1
	s_branch .LBB34_6
	.p2align	6
.LBB34_5:                               ;   in Loop: Header=BB34_6 Depth=2
	v_add_nc_u32_e32 v2, s24, v2
	s_delay_alu instid0(VALU_DEP_1) | instskip(SKIP_1) | instid1(SALU_CYCLE_1)
	v_cmp_le_u32_e32 vcc_lo, s5, v2
	s_or_b32 s25, vcc_lo, s25
	s_and_not1_b32 exec_lo, exec_lo, s25
	s_cbranch_execz .LBB34_2
.LBB34_6:                               ;   Parent Loop BB34_3 Depth=1
                                        ; =>  This Loop Header: Depth=2
                                        ;       Child Loop BB34_8 Depth 3
	s_and_not1_b32 vcc_lo, exec_lo, s15
	s_cbranch_vccnz .LBB34_5
; %bb.7:                                ;   in Loop: Header=BB34_6 Depth=2
	v_lshlrev_b64 v[4:5], 3, v[2:3]
	s_mov_b32 s26, s6
	s_delay_alu instid0(VALU_DEP_1) | instskip(NEXT) | instid1(VALU_DEP_2)
	v_add_co_u32 v0, vcc_lo, s20, v4
	v_add_co_ci_u32_e32 v6, vcc_lo, s21, v5, vcc_lo
	v_dual_mov_b32 v5, s3 :: v_dual_mov_b32 v4, s2
	.p2align	6
.LBB34_8:                               ;   Parent Loop BB34_3 Depth=1
                                        ;     Parent Loop BB34_6 Depth=2
                                        ; =>    This Inner Loop Header: Depth=3
	s_delay_alu instid0(VALU_DEP_3) | instskip(NEXT) | instid1(VALU_DEP_3)
	v_add_co_u32 v7, vcc_lo, s10, v0
	v_add_co_ci_u32_e32 v8, vcc_lo, s11, v6, vcc_lo
	v_add_co_u32 v10, vcc_lo, s8, v0
	v_add_co_ci_u32_e32 v11, vcc_lo, s9, v6, vcc_lo
	global_load_b64 v[7:8], v[7:8], off
	v_add_co_u32 v0, vcc_lo, v0, s18
	v_add_co_ci_u32_e32 v6, vcc_lo, s19, v6, vcc_lo
	s_add_i32 s26, s26, -1
	s_delay_alu instid0(SALU_CYCLE_1) | instskip(SKIP_4) | instid1(VALU_DEP_1)
	s_cmp_eq_u32 s26, 0
	s_waitcnt vmcnt(0)
	v_mul_lo_u32 v12, v8, v4
	v_mul_lo_u32 v5, v7, v5
	v_mad_u64_u32 v[8:9], null, v7, v4, 0
	v_add3_u32 v9, v9, v5, v12
	s_delay_alu instid0(VALU_DEP_1)
	v_dual_mov_b32 v4, v8 :: v_dual_mov_b32 v5, v9
	global_store_b64 v[10:11], v[8:9], off
	s_cbranch_scc0 .LBB34_8
	s_branch .LBB34_5
.LBB34_9:
	s_nop 0
	s_sendmsg sendmsg(MSG_DEALLOC_VGPRS)
	s_endpgm
	.section	.rodata,"a",@progbits
	.p2align	6, 0x0
	.amdhsa_kernel _ZN2at6native28tensor_kernel_scan_outer_dimIljSt10multipliesIlEEEvPT_PKS4_jjjS4_T1_
		.amdhsa_group_segment_fixed_size 0
		.amdhsa_private_segment_fixed_size 0
		.amdhsa_kernarg_size 304
		.amdhsa_user_sgpr_count 14
		.amdhsa_user_sgpr_dispatch_ptr 0
		.amdhsa_user_sgpr_queue_ptr 0
		.amdhsa_user_sgpr_kernarg_segment_ptr 1
		.amdhsa_user_sgpr_dispatch_id 0
		.amdhsa_user_sgpr_private_segment_size 0
		.amdhsa_wavefront_size32 1
		.amdhsa_uses_dynamic_stack 0
		.amdhsa_enable_private_segment 0
		.amdhsa_system_sgpr_workgroup_id_x 1
		.amdhsa_system_sgpr_workgroup_id_y 1
		.amdhsa_system_sgpr_workgroup_id_z 0
		.amdhsa_system_sgpr_workgroup_info 0
		.amdhsa_system_vgpr_workitem_id 0
		.amdhsa_next_free_vgpr 13
		.amdhsa_next_free_sgpr 27
		.amdhsa_reserve_vcc 1
		.amdhsa_float_round_mode_32 0
		.amdhsa_float_round_mode_16_64 0
		.amdhsa_float_denorm_mode_32 3
		.amdhsa_float_denorm_mode_16_64 3
		.amdhsa_dx10_clamp 1
		.amdhsa_ieee_mode 1
		.amdhsa_fp16_overflow 0
		.amdhsa_workgroup_processor_mode 1
		.amdhsa_memory_ordered 1
		.amdhsa_forward_progress 0
		.amdhsa_shared_vgpr_count 0
		.amdhsa_exception_fp_ieee_invalid_op 0
		.amdhsa_exception_fp_denorm_src 0
		.amdhsa_exception_fp_ieee_div_zero 0
		.amdhsa_exception_fp_ieee_overflow 0
		.amdhsa_exception_fp_ieee_underflow 0
		.amdhsa_exception_fp_ieee_inexact 0
		.amdhsa_exception_int_div_zero 0
	.end_amdhsa_kernel
	.section	.text._ZN2at6native28tensor_kernel_scan_outer_dimIljSt10multipliesIlEEEvPT_PKS4_jjjS4_T1_,"axG",@progbits,_ZN2at6native28tensor_kernel_scan_outer_dimIljSt10multipliesIlEEEvPT_PKS4_jjjS4_T1_,comdat
.Lfunc_end34:
	.size	_ZN2at6native28tensor_kernel_scan_outer_dimIljSt10multipliesIlEEEvPT_PKS4_jjjS4_T1_, .Lfunc_end34-_ZN2at6native28tensor_kernel_scan_outer_dimIljSt10multipliesIlEEEvPT_PKS4_jjjS4_T1_
                                        ; -- End function
	.section	.AMDGPU.csdata,"",@progbits
; Kernel info:
; codeLenInByte = 420
; NumSgprs: 29
; NumVgprs: 13
; ScratchSize: 0
; MemoryBound: 0
; FloatMode: 240
; IeeeMode: 1
; LDSByteSize: 0 bytes/workgroup (compile time only)
; SGPRBlocks: 3
; VGPRBlocks: 1
; NumSGPRsForWavesPerEU: 29
; NumVGPRsForWavesPerEU: 13
; Occupancy: 16
; WaveLimiterHint : 0
; COMPUTE_PGM_RSRC2:SCRATCH_EN: 0
; COMPUTE_PGM_RSRC2:USER_SGPR: 14
; COMPUTE_PGM_RSRC2:TRAP_HANDLER: 0
; COMPUTE_PGM_RSRC2:TGID_X_EN: 1
; COMPUTE_PGM_RSRC2:TGID_Y_EN: 1
; COMPUTE_PGM_RSRC2:TGID_Z_EN: 0
; COMPUTE_PGM_RSRC2:TIDIG_COMP_CNT: 0
	.section	.text._ZN2at6native28tensor_kernel_scan_outer_dimIlmSt10multipliesIlEEEvPT_PKS4_jjjS4_T1_,"axG",@progbits,_ZN2at6native28tensor_kernel_scan_outer_dimIlmSt10multipliesIlEEEvPT_PKS4_jjjS4_T1_,comdat
	.protected	_ZN2at6native28tensor_kernel_scan_outer_dimIlmSt10multipliesIlEEEvPT_PKS4_jjjS4_T1_ ; -- Begin function _ZN2at6native28tensor_kernel_scan_outer_dimIlmSt10multipliesIlEEEvPT_PKS4_jjjS4_T1_
	.globl	_ZN2at6native28tensor_kernel_scan_outer_dimIlmSt10multipliesIlEEEvPT_PKS4_jjjS4_T1_
	.p2align	8
	.type	_ZN2at6native28tensor_kernel_scan_outer_dimIlmSt10multipliesIlEEEvPT_PKS4_jjjS4_T1_,@function
_ZN2at6native28tensor_kernel_scan_outer_dimIlmSt10multipliesIlEEEvPT_PKS4_jjjS4_T1_: ; @_ZN2at6native28tensor_kernel_scan_outer_dimIlmSt10multipliesIlEEEvPT_PKS4_jjjS4_T1_
; %bb.0:
	s_load_b128 s[4:7], s[0:1], 0x10
	s_waitcnt lgkmcnt(0)
	s_cmp_ge_u32 s14, s4
	s_cbranch_scc1 .LBB35_9
; %bb.1:
	s_clause 0x3
	s_load_b32 s16, s[0:1], 0x3c
	s_load_b32 s7, s[0:1], 0x30
	s_load_b128 s[8:11], s[0:1], 0x0
	s_load_b64 s[2:3], s[0:1], 0x20
	s_add_u32 s12, s0, 48
	s_addc_u32 s13, s1, 0
	v_mov_b32_e32 v3, 0
	s_mov_b32 s19, 0
	s_mul_hi_u32 s17, s6, s5
	s_mov_b32 s18, s5
	s_waitcnt lgkmcnt(0)
	s_and_b32 s1, s16, 0xffff
	s_cmp_lg_u32 s6, 0
	v_mad_u64_u32 v[1:2], null, s15, s1, v[0:1]
	s_mul_i32 s16, s6, s5
	s_cselect_b32 s15, -1, 0
	s_lshl_b64 s[16:17], s[16:17], 3
	s_lshl_b64 s[18:19], s[18:19], 3
	s_delay_alu instid0(VALU_DEP_1)
	v_cmp_gt_u32_e64 s0, s5, v1
	s_branch .LBB35_3
.LBB35_2:                               ;   in Loop: Header=BB35_3 Depth=1
	s_set_inst_prefetch_distance 0x2
	s_or_b32 exec_lo, exec_lo, s20
	s_add_i32 s14, s14, s7
	s_delay_alu instid0(SALU_CYCLE_1)
	s_cmp_ge_u32 s14, s4
	s_cbranch_scc1 .LBB35_9
.LBB35_3:                               ; =>This Loop Header: Depth=1
                                        ;     Child Loop BB35_6 Depth 2
                                        ;       Child Loop BB35_8 Depth 3
	s_delay_alu instid0(VALU_DEP_1)
	s_and_saveexec_b32 s20, s0
	s_cbranch_execz .LBB35_2
; %bb.4:                                ;   in Loop: Header=BB35_3 Depth=1
	s_load_b32 s23, s[12:13], 0x4
	v_mov_b32_e32 v2, v1
	s_mul_i32 s22, s17, s14
	s_mul_hi_u32 s24, s16, s14
	s_mul_i32 s21, s16, s14
	s_add_i32 s22, s24, s22
	s_mov_b32 s24, 0
	s_waitcnt lgkmcnt(0)
	s_mul_i32 s23, s23, s1
	s_set_inst_prefetch_distance 0x1
	s_branch .LBB35_6
	.p2align	6
.LBB35_5:                               ;   in Loop: Header=BB35_6 Depth=2
	v_add_nc_u32_e32 v2, s23, v2
	s_delay_alu instid0(VALU_DEP_1) | instskip(SKIP_1) | instid1(SALU_CYCLE_1)
	v_cmp_le_u32_e32 vcc_lo, s5, v2
	s_or_b32 s24, vcc_lo, s24
	s_and_not1_b32 exec_lo, exec_lo, s24
	s_cbranch_execz .LBB35_2
.LBB35_6:                               ;   Parent Loop BB35_3 Depth=1
                                        ; =>  This Loop Header: Depth=2
                                        ;       Child Loop BB35_8 Depth 3
	s_and_not1_b32 vcc_lo, exec_lo, s15
	s_cbranch_vccnz .LBB35_5
; %bb.7:                                ;   in Loop: Header=BB35_6 Depth=2
	v_lshlrev_b64 v[4:5], 3, v[2:3]
	s_mov_b32 s25, s6
	s_delay_alu instid0(VALU_DEP_1) | instskip(NEXT) | instid1(VALU_DEP_2)
	v_add_co_u32 v0, vcc_lo, s21, v4
	v_add_co_ci_u32_e32 v6, vcc_lo, s22, v5, vcc_lo
	v_dual_mov_b32 v5, s3 :: v_dual_mov_b32 v4, s2
	.p2align	6
.LBB35_8:                               ;   Parent Loop BB35_3 Depth=1
                                        ;     Parent Loop BB35_6 Depth=2
                                        ; =>    This Inner Loop Header: Depth=3
	s_delay_alu instid0(VALU_DEP_3) | instskip(NEXT) | instid1(VALU_DEP_3)
	v_add_co_u32 v7, vcc_lo, s10, v0
	v_add_co_ci_u32_e32 v8, vcc_lo, s11, v6, vcc_lo
	v_add_co_u32 v10, vcc_lo, s8, v0
	v_add_co_ci_u32_e32 v11, vcc_lo, s9, v6, vcc_lo
	global_load_b64 v[7:8], v[7:8], off
	v_add_co_u32 v0, vcc_lo, v0, s18
	v_add_co_ci_u32_e32 v6, vcc_lo, s19, v6, vcc_lo
	s_add_i32 s25, s25, -1
	s_delay_alu instid0(SALU_CYCLE_1) | instskip(SKIP_4) | instid1(VALU_DEP_1)
	s_cmp_eq_u32 s25, 0
	s_waitcnt vmcnt(0)
	v_mul_lo_u32 v12, v8, v4
	v_mul_lo_u32 v5, v7, v5
	v_mad_u64_u32 v[8:9], null, v7, v4, 0
	v_add3_u32 v9, v9, v5, v12
	s_delay_alu instid0(VALU_DEP_1)
	v_dual_mov_b32 v4, v8 :: v_dual_mov_b32 v5, v9
	global_store_b64 v[10:11], v[8:9], off
	s_cbranch_scc0 .LBB35_8
	s_branch .LBB35_5
.LBB35_9:
	s_nop 0
	s_sendmsg sendmsg(MSG_DEALLOC_VGPRS)
	s_endpgm
	.section	.rodata,"a",@progbits
	.p2align	6, 0x0
	.amdhsa_kernel _ZN2at6native28tensor_kernel_scan_outer_dimIlmSt10multipliesIlEEEvPT_PKS4_jjjS4_T1_
		.amdhsa_group_segment_fixed_size 0
		.amdhsa_private_segment_fixed_size 0
		.amdhsa_kernarg_size 304
		.amdhsa_user_sgpr_count 14
		.amdhsa_user_sgpr_dispatch_ptr 0
		.amdhsa_user_sgpr_queue_ptr 0
		.amdhsa_user_sgpr_kernarg_segment_ptr 1
		.amdhsa_user_sgpr_dispatch_id 0
		.amdhsa_user_sgpr_private_segment_size 0
		.amdhsa_wavefront_size32 1
		.amdhsa_uses_dynamic_stack 0
		.amdhsa_enable_private_segment 0
		.amdhsa_system_sgpr_workgroup_id_x 1
		.amdhsa_system_sgpr_workgroup_id_y 1
		.amdhsa_system_sgpr_workgroup_id_z 0
		.amdhsa_system_sgpr_workgroup_info 0
		.amdhsa_system_vgpr_workitem_id 0
		.amdhsa_next_free_vgpr 13
		.amdhsa_next_free_sgpr 26
		.amdhsa_reserve_vcc 1
		.amdhsa_float_round_mode_32 0
		.amdhsa_float_round_mode_16_64 0
		.amdhsa_float_denorm_mode_32 3
		.amdhsa_float_denorm_mode_16_64 3
		.amdhsa_dx10_clamp 1
		.amdhsa_ieee_mode 1
		.amdhsa_fp16_overflow 0
		.amdhsa_workgroup_processor_mode 1
		.amdhsa_memory_ordered 1
		.amdhsa_forward_progress 0
		.amdhsa_shared_vgpr_count 0
		.amdhsa_exception_fp_ieee_invalid_op 0
		.amdhsa_exception_fp_denorm_src 0
		.amdhsa_exception_fp_ieee_div_zero 0
		.amdhsa_exception_fp_ieee_overflow 0
		.amdhsa_exception_fp_ieee_underflow 0
		.amdhsa_exception_fp_ieee_inexact 0
		.amdhsa_exception_int_div_zero 0
	.end_amdhsa_kernel
	.section	.text._ZN2at6native28tensor_kernel_scan_outer_dimIlmSt10multipliesIlEEEvPT_PKS4_jjjS4_T1_,"axG",@progbits,_ZN2at6native28tensor_kernel_scan_outer_dimIlmSt10multipliesIlEEEvPT_PKS4_jjjS4_T1_,comdat
.Lfunc_end35:
	.size	_ZN2at6native28tensor_kernel_scan_outer_dimIlmSt10multipliesIlEEEvPT_PKS4_jjjS4_T1_, .Lfunc_end35-_ZN2at6native28tensor_kernel_scan_outer_dimIlmSt10multipliesIlEEEvPT_PKS4_jjjS4_T1_
                                        ; -- End function
	.section	.AMDGPU.csdata,"",@progbits
; Kernel info:
; codeLenInByte = 424
; NumSgprs: 28
; NumVgprs: 13
; ScratchSize: 0
; MemoryBound: 0
; FloatMode: 240
; IeeeMode: 1
; LDSByteSize: 0 bytes/workgroup (compile time only)
; SGPRBlocks: 3
; VGPRBlocks: 1
; NumSGPRsForWavesPerEU: 28
; NumVGPRsForWavesPerEU: 13
; Occupancy: 16
; WaveLimiterHint : 0
; COMPUTE_PGM_RSRC2:SCRATCH_EN: 0
; COMPUTE_PGM_RSRC2:USER_SGPR: 14
; COMPUTE_PGM_RSRC2:TRAP_HANDLER: 0
; COMPUTE_PGM_RSRC2:TGID_X_EN: 1
; COMPUTE_PGM_RSRC2:TGID_Y_EN: 1
; COMPUTE_PGM_RSRC2:TGID_Z_EN: 0
; COMPUTE_PGM_RSRC2:TIDIG_COMP_CNT: 0
	.section	.text._ZN7rocprim17ROCPRIM_304000_NS6detail31init_lookback_scan_state_kernelINS1_19lookback_scan_stateIsLb1ELb1EEEEEvT_jjPNS5_10value_typeE,"axG",@progbits,_ZN7rocprim17ROCPRIM_304000_NS6detail31init_lookback_scan_state_kernelINS1_19lookback_scan_stateIsLb1ELb1EEEEEvT_jjPNS5_10value_typeE,comdat
	.protected	_ZN7rocprim17ROCPRIM_304000_NS6detail31init_lookback_scan_state_kernelINS1_19lookback_scan_stateIsLb1ELb1EEEEEvT_jjPNS5_10value_typeE ; -- Begin function _ZN7rocprim17ROCPRIM_304000_NS6detail31init_lookback_scan_state_kernelINS1_19lookback_scan_stateIsLb1ELb1EEEEEvT_jjPNS5_10value_typeE
	.globl	_ZN7rocprim17ROCPRIM_304000_NS6detail31init_lookback_scan_state_kernelINS1_19lookback_scan_stateIsLb1ELb1EEEEEvT_jjPNS5_10value_typeE
	.p2align	8
	.type	_ZN7rocprim17ROCPRIM_304000_NS6detail31init_lookback_scan_state_kernelINS1_19lookback_scan_stateIsLb1ELb1EEEEEvT_jjPNS5_10value_typeE,@function
_ZN7rocprim17ROCPRIM_304000_NS6detail31init_lookback_scan_state_kernelINS1_19lookback_scan_stateIsLb1ELb1EEEEEvT_jjPNS5_10value_typeE: ; @_ZN7rocprim17ROCPRIM_304000_NS6detail31init_lookback_scan_state_kernelINS1_19lookback_scan_stateIsLb1ELb1EEEEEvT_jjPNS5_10value_typeE
; %bb.0:
	s_clause 0x2
	s_load_b32 s6, s[0:1], 0x24
	s_load_b64 s[4:5], s[0:1], 0x10
	s_load_b128 s[0:3], s[0:1], 0x0
	s_waitcnt lgkmcnt(0)
	s_and_b32 s6, s6, 0xffff
	s_cmp_eq_u64 s[4:5], 0
	v_mad_u64_u32 v[1:2], null, s15, s6, v[0:1]
	s_cbranch_scc1 .LBB36_9
; %bb.1:
	s_cmp_lt_u32 s3, s2
	s_mov_b32 s7, 0
	s_cselect_b32 s6, s3, 0
	s_mov_b32 s8, exec_lo
	s_delay_alu instid0(VALU_DEP_1)
	v_cmpx_eq_u32_e64 s6, v1
	s_cbranch_execz .LBB36_8
; %bb.2:
	s_add_i32 s6, s3, 32
	v_mov_b32_e32 v0, 0
	s_lshl_b64 s[6:7], s[6:7], 2
	s_delay_alu instid0(SALU_CYCLE_1) | instskip(SKIP_4) | instid1(VALU_DEP_1)
	s_add_u32 s6, s0, s6
	s_addc_u32 s7, s1, s7
	global_load_b32 v2, v0, s[6:7] glc
	s_waitcnt vmcnt(0)
	v_and_b32_e32 v3, 0xff0000, v2
	v_cmp_ne_u32_e32 vcc_lo, 0, v3
	s_cbranch_vccnz .LBB36_7
; %bb.3:
	s_mov_b32 s3, 1
.LBB36_4:                               ; =>This Loop Header: Depth=1
                                        ;     Child Loop BB36_5 Depth 2
	s_delay_alu instid0(SALU_CYCLE_1)
	s_max_u32 s9, s3, 1
.LBB36_5:                               ;   Parent Loop BB36_4 Depth=1
                                        ; =>  This Inner Loop Header: Depth=2
	s_delay_alu instid0(SALU_CYCLE_1)
	s_add_i32 s9, s9, -1
	s_sleep 1
	s_cmp_eq_u32 s9, 0
	s_cbranch_scc0 .LBB36_5
; %bb.6:                                ;   in Loop: Header=BB36_4 Depth=1
	global_load_b32 v2, v0, s[6:7] glc
	s_cmp_lt_u32 s3, 32
	s_cselect_b32 s9, -1, 0
	s_delay_alu instid0(SALU_CYCLE_1) | instskip(SKIP_3) | instid1(VALU_DEP_1)
	s_cmp_lg_u32 s9, 0
	s_addc_u32 s3, s3, 0
	s_waitcnt vmcnt(0)
	v_and_b32_e32 v3, 0xff0000, v2
	v_cmp_ne_u32_e32 vcc_lo, 0, v3
	s_cbranch_vccz .LBB36_4
.LBB36_7:
	v_mov_b32_e32 v0, 0
	global_store_b16 v0, v2, s[4:5]
.LBB36_8:
	s_or_b32 exec_lo, exec_lo, s8
.LBB36_9:
	s_delay_alu instid0(VALU_DEP_1)
	v_cmp_gt_u32_e32 vcc_lo, s2, v1
	s_and_saveexec_b32 s2, vcc_lo
	s_cbranch_execz .LBB36_11
; %bb.10:
	v_dual_mov_b32 v3, 0 :: v_dual_add_nc_u32 v2, 32, v1
	s_delay_alu instid0(VALU_DEP_1) | instskip(NEXT) | instid1(VALU_DEP_1)
	v_lshlrev_b64 v[4:5], 2, v[2:3]
	v_add_co_u32 v4, vcc_lo, s0, v4
	s_delay_alu instid0(VALU_DEP_2)
	v_add_co_ci_u32_e32 v5, vcc_lo, s1, v5, vcc_lo
	global_store_b32 v[4:5], v3, off
.LBB36_11:
	s_or_b32 exec_lo, exec_lo, s2
	s_delay_alu instid0(SALU_CYCLE_1)
	s_mov_b32 s2, exec_lo
	v_cmpx_gt_u32_e32 32, v1
	s_cbranch_execz .LBB36_13
; %bb.12:
	v_mov_b32_e32 v2, 0
	s_delay_alu instid0(VALU_DEP_1) | instskip(SKIP_1) | instid1(VALU_DEP_2)
	v_lshlrev_b64 v[0:1], 2, v[1:2]
	v_mov_b32_e32 v2, 0xff0000
	v_add_co_u32 v0, vcc_lo, s0, v0
	s_delay_alu instid0(VALU_DEP_3)
	v_add_co_ci_u32_e32 v1, vcc_lo, s1, v1, vcc_lo
	global_store_b32 v[0:1], v2, off
.LBB36_13:
	s_nop 0
	s_sendmsg sendmsg(MSG_DEALLOC_VGPRS)
	s_endpgm
	.section	.rodata,"a",@progbits
	.p2align	6, 0x0
	.amdhsa_kernel _ZN7rocprim17ROCPRIM_304000_NS6detail31init_lookback_scan_state_kernelINS1_19lookback_scan_stateIsLb1ELb1EEEEEvT_jjPNS5_10value_typeE
		.amdhsa_group_segment_fixed_size 0
		.amdhsa_private_segment_fixed_size 0
		.amdhsa_kernarg_size 280
		.amdhsa_user_sgpr_count 15
		.amdhsa_user_sgpr_dispatch_ptr 0
		.amdhsa_user_sgpr_queue_ptr 0
		.amdhsa_user_sgpr_kernarg_segment_ptr 1
		.amdhsa_user_sgpr_dispatch_id 0
		.amdhsa_user_sgpr_private_segment_size 0
		.amdhsa_wavefront_size32 1
		.amdhsa_uses_dynamic_stack 0
		.amdhsa_enable_private_segment 0
		.amdhsa_system_sgpr_workgroup_id_x 1
		.amdhsa_system_sgpr_workgroup_id_y 0
		.amdhsa_system_sgpr_workgroup_id_z 0
		.amdhsa_system_sgpr_workgroup_info 0
		.amdhsa_system_vgpr_workitem_id 0
		.amdhsa_next_free_vgpr 6
		.amdhsa_next_free_sgpr 16
		.amdhsa_reserve_vcc 1
		.amdhsa_float_round_mode_32 0
		.amdhsa_float_round_mode_16_64 0
		.amdhsa_float_denorm_mode_32 3
		.amdhsa_float_denorm_mode_16_64 3
		.amdhsa_dx10_clamp 1
		.amdhsa_ieee_mode 1
		.amdhsa_fp16_overflow 0
		.amdhsa_workgroup_processor_mode 1
		.amdhsa_memory_ordered 1
		.amdhsa_forward_progress 0
		.amdhsa_shared_vgpr_count 0
		.amdhsa_exception_fp_ieee_invalid_op 0
		.amdhsa_exception_fp_denorm_src 0
		.amdhsa_exception_fp_ieee_div_zero 0
		.amdhsa_exception_fp_ieee_overflow 0
		.amdhsa_exception_fp_ieee_underflow 0
		.amdhsa_exception_fp_ieee_inexact 0
		.amdhsa_exception_int_div_zero 0
	.end_amdhsa_kernel
	.section	.text._ZN7rocprim17ROCPRIM_304000_NS6detail31init_lookback_scan_state_kernelINS1_19lookback_scan_stateIsLb1ELb1EEEEEvT_jjPNS5_10value_typeE,"axG",@progbits,_ZN7rocprim17ROCPRIM_304000_NS6detail31init_lookback_scan_state_kernelINS1_19lookback_scan_stateIsLb1ELb1EEEEEvT_jjPNS5_10value_typeE,comdat
.Lfunc_end36:
	.size	_ZN7rocprim17ROCPRIM_304000_NS6detail31init_lookback_scan_state_kernelINS1_19lookback_scan_stateIsLb1ELb1EEEEEvT_jjPNS5_10value_typeE, .Lfunc_end36-_ZN7rocprim17ROCPRIM_304000_NS6detail31init_lookback_scan_state_kernelINS1_19lookback_scan_stateIsLb1ELb1EEEEEvT_jjPNS5_10value_typeE
                                        ; -- End function
	.section	.AMDGPU.csdata,"",@progbits
; Kernel info:
; codeLenInByte = 376
; NumSgprs: 18
; NumVgprs: 6
; ScratchSize: 0
; MemoryBound: 0
; FloatMode: 240
; IeeeMode: 1
; LDSByteSize: 0 bytes/workgroup (compile time only)
; SGPRBlocks: 2
; VGPRBlocks: 0
; NumSGPRsForWavesPerEU: 18
; NumVGPRsForWavesPerEU: 6
; Occupancy: 16
; WaveLimiterHint : 0
; COMPUTE_PGM_RSRC2:SCRATCH_EN: 0
; COMPUTE_PGM_RSRC2:USER_SGPR: 15
; COMPUTE_PGM_RSRC2:TRAP_HANDLER: 0
; COMPUTE_PGM_RSRC2:TGID_X_EN: 1
; COMPUTE_PGM_RSRC2:TGID_Y_EN: 0
; COMPUTE_PGM_RSRC2:TGID_Z_EN: 0
; COMPUTE_PGM_RSRC2:TIDIG_COMP_CNT: 0
	.section	.text._ZN7rocprim17ROCPRIM_304000_NS6detail31init_lookback_scan_state_kernelINS1_19lookback_scan_stateIsLb0ELb1EEEEEvT_jjPNS5_10value_typeE,"axG",@progbits,_ZN7rocprim17ROCPRIM_304000_NS6detail31init_lookback_scan_state_kernelINS1_19lookback_scan_stateIsLb0ELb1EEEEEvT_jjPNS5_10value_typeE,comdat
	.protected	_ZN7rocprim17ROCPRIM_304000_NS6detail31init_lookback_scan_state_kernelINS1_19lookback_scan_stateIsLb0ELb1EEEEEvT_jjPNS5_10value_typeE ; -- Begin function _ZN7rocprim17ROCPRIM_304000_NS6detail31init_lookback_scan_state_kernelINS1_19lookback_scan_stateIsLb0ELb1EEEEEvT_jjPNS5_10value_typeE
	.globl	_ZN7rocprim17ROCPRIM_304000_NS6detail31init_lookback_scan_state_kernelINS1_19lookback_scan_stateIsLb0ELb1EEEEEvT_jjPNS5_10value_typeE
	.p2align	8
	.type	_ZN7rocprim17ROCPRIM_304000_NS6detail31init_lookback_scan_state_kernelINS1_19lookback_scan_stateIsLb0ELb1EEEEEvT_jjPNS5_10value_typeE,@function
_ZN7rocprim17ROCPRIM_304000_NS6detail31init_lookback_scan_state_kernelINS1_19lookback_scan_stateIsLb0ELb1EEEEEvT_jjPNS5_10value_typeE: ; @_ZN7rocprim17ROCPRIM_304000_NS6detail31init_lookback_scan_state_kernelINS1_19lookback_scan_stateIsLb0ELb1EEEEEvT_jjPNS5_10value_typeE
; %bb.0:
	s_clause 0x2
	s_load_b32 s6, s[0:1], 0x24
	s_load_b64 s[4:5], s[0:1], 0x10
	s_load_b128 s[0:3], s[0:1], 0x0
	s_waitcnt lgkmcnt(0)
	s_and_b32 s6, s6, 0xffff
	s_cmp_eq_u64 s[4:5], 0
	v_mad_u64_u32 v[1:2], null, s15, s6, v[0:1]
	s_cbranch_scc1 .LBB37_6
; %bb.1:
	s_cmp_lt_u32 s3, s2
	s_mov_b32 s7, 0
	s_cselect_b32 s6, s3, 0
	s_mov_b32 s8, exec_lo
	s_delay_alu instid0(VALU_DEP_1)
	v_cmpx_eq_u32_e64 s6, v1
	s_cbranch_execz .LBB37_5
; %bb.2:
	s_add_i32 s6, s3, 32
	v_mov_b32_e32 v2, 0
	s_lshl_b64 s[6:7], s[6:7], 2
	s_delay_alu instid0(SALU_CYCLE_1) | instskip(SKIP_4) | instid1(VALU_DEP_1)
	s_add_u32 s6, s0, s6
	s_addc_u32 s7, s1, s7
	global_load_b32 v0, v2, s[6:7] glc
	s_waitcnt vmcnt(0)
	v_and_b32_e32 v3, 0xff0000, v0
	v_cmp_ne_u32_e32 vcc_lo, 0, v3
	s_cbranch_vccnz .LBB37_4
.LBB37_3:                               ; =>This Inner Loop Header: Depth=1
	global_load_b32 v0, v2, s[6:7] glc
	s_waitcnt vmcnt(0)
	v_and_b32_e32 v3, 0xff0000, v0
	s_delay_alu instid0(VALU_DEP_1)
	v_cmp_eq_u32_e32 vcc_lo, 0, v3
	s_cbranch_vccnz .LBB37_3
.LBB37_4:
	v_mov_b32_e32 v2, 0
	global_store_b16 v2, v0, s[4:5]
.LBB37_5:
	s_or_b32 exec_lo, exec_lo, s8
.LBB37_6:
	s_delay_alu instid0(VALU_DEP_1)
	v_cmp_gt_u32_e32 vcc_lo, s2, v1
	s_and_saveexec_b32 s2, vcc_lo
	s_cbranch_execz .LBB37_8
; %bb.7:
	v_dual_mov_b32 v3, 0 :: v_dual_add_nc_u32 v2, 32, v1
	s_delay_alu instid0(VALU_DEP_1) | instskip(NEXT) | instid1(VALU_DEP_1)
	v_lshlrev_b64 v[4:5], 2, v[2:3]
	v_add_co_u32 v4, vcc_lo, s0, v4
	s_delay_alu instid0(VALU_DEP_2)
	v_add_co_ci_u32_e32 v5, vcc_lo, s1, v5, vcc_lo
	global_store_b32 v[4:5], v3, off
.LBB37_8:
	s_or_b32 exec_lo, exec_lo, s2
	s_delay_alu instid0(SALU_CYCLE_1)
	s_mov_b32 s2, exec_lo
	v_cmpx_gt_u32_e32 32, v1
	s_cbranch_execz .LBB37_10
; %bb.9:
	v_mov_b32_e32 v2, 0
	s_delay_alu instid0(VALU_DEP_1) | instskip(SKIP_1) | instid1(VALU_DEP_2)
	v_lshlrev_b64 v[0:1], 2, v[1:2]
	v_mov_b32_e32 v2, 0xff0000
	v_add_co_u32 v0, vcc_lo, s0, v0
	s_delay_alu instid0(VALU_DEP_3)
	v_add_co_ci_u32_e32 v1, vcc_lo, s1, v1, vcc_lo
	global_store_b32 v[0:1], v2, off
.LBB37_10:
	s_nop 0
	s_sendmsg sendmsg(MSG_DEALLOC_VGPRS)
	s_endpgm
	.section	.rodata,"a",@progbits
	.p2align	6, 0x0
	.amdhsa_kernel _ZN7rocprim17ROCPRIM_304000_NS6detail31init_lookback_scan_state_kernelINS1_19lookback_scan_stateIsLb0ELb1EEEEEvT_jjPNS5_10value_typeE
		.amdhsa_group_segment_fixed_size 0
		.amdhsa_private_segment_fixed_size 0
		.amdhsa_kernarg_size 280
		.amdhsa_user_sgpr_count 15
		.amdhsa_user_sgpr_dispatch_ptr 0
		.amdhsa_user_sgpr_queue_ptr 0
		.amdhsa_user_sgpr_kernarg_segment_ptr 1
		.amdhsa_user_sgpr_dispatch_id 0
		.amdhsa_user_sgpr_private_segment_size 0
		.amdhsa_wavefront_size32 1
		.amdhsa_uses_dynamic_stack 0
		.amdhsa_enable_private_segment 0
		.amdhsa_system_sgpr_workgroup_id_x 1
		.amdhsa_system_sgpr_workgroup_id_y 0
		.amdhsa_system_sgpr_workgroup_id_z 0
		.amdhsa_system_sgpr_workgroup_info 0
		.amdhsa_system_vgpr_workitem_id 0
		.amdhsa_next_free_vgpr 6
		.amdhsa_next_free_sgpr 16
		.amdhsa_reserve_vcc 1
		.amdhsa_float_round_mode_32 0
		.amdhsa_float_round_mode_16_64 0
		.amdhsa_float_denorm_mode_32 3
		.amdhsa_float_denorm_mode_16_64 3
		.amdhsa_dx10_clamp 1
		.amdhsa_ieee_mode 1
		.amdhsa_fp16_overflow 0
		.amdhsa_workgroup_processor_mode 1
		.amdhsa_memory_ordered 1
		.amdhsa_forward_progress 0
		.amdhsa_shared_vgpr_count 0
		.amdhsa_exception_fp_ieee_invalid_op 0
		.amdhsa_exception_fp_denorm_src 0
		.amdhsa_exception_fp_ieee_div_zero 0
		.amdhsa_exception_fp_ieee_overflow 0
		.amdhsa_exception_fp_ieee_underflow 0
		.amdhsa_exception_fp_ieee_inexact 0
		.amdhsa_exception_int_div_zero 0
	.end_amdhsa_kernel
	.section	.text._ZN7rocprim17ROCPRIM_304000_NS6detail31init_lookback_scan_state_kernelINS1_19lookback_scan_stateIsLb0ELb1EEEEEvT_jjPNS5_10value_typeE,"axG",@progbits,_ZN7rocprim17ROCPRIM_304000_NS6detail31init_lookback_scan_state_kernelINS1_19lookback_scan_stateIsLb0ELb1EEEEEvT_jjPNS5_10value_typeE,comdat
.Lfunc_end37:
	.size	_ZN7rocprim17ROCPRIM_304000_NS6detail31init_lookback_scan_state_kernelINS1_19lookback_scan_stateIsLb0ELb1EEEEEvT_jjPNS5_10value_typeE, .Lfunc_end37-_ZN7rocprim17ROCPRIM_304000_NS6detail31init_lookback_scan_state_kernelINS1_19lookback_scan_stateIsLb0ELb1EEEEEvT_jjPNS5_10value_typeE
                                        ; -- End function
	.section	.AMDGPU.csdata,"",@progbits
; Kernel info:
; codeLenInByte = 328
; NumSgprs: 18
; NumVgprs: 6
; ScratchSize: 0
; MemoryBound: 0
; FloatMode: 240
; IeeeMode: 1
; LDSByteSize: 0 bytes/workgroup (compile time only)
; SGPRBlocks: 2
; VGPRBlocks: 0
; NumSGPRsForWavesPerEU: 18
; NumVGPRsForWavesPerEU: 6
; Occupancy: 16
; WaveLimiterHint : 0
; COMPUTE_PGM_RSRC2:SCRATCH_EN: 0
; COMPUTE_PGM_RSRC2:USER_SGPR: 15
; COMPUTE_PGM_RSRC2:TRAP_HANDLER: 0
; COMPUTE_PGM_RSRC2:TGID_X_EN: 1
; COMPUTE_PGM_RSRC2:TGID_Y_EN: 0
; COMPUTE_PGM_RSRC2:TGID_Z_EN: 0
; COMPUTE_PGM_RSRC2:TIDIG_COMP_CNT: 0
	.section	.text._ZN7rocprim17ROCPRIM_304000_NS6detail20lookback_scan_kernelILNS1_25lookback_scan_determinismE0ELb0ENS1_19wrapped_scan_configINS0_14default_configEsEEPKsPsSt10multipliesIsEssNS1_19lookback_scan_stateIsLb1ELb1EEEEEvT2_T3_mT5_T4_T7_jPT6_SK_bb,"axG",@progbits,_ZN7rocprim17ROCPRIM_304000_NS6detail20lookback_scan_kernelILNS1_25lookback_scan_determinismE0ELb0ENS1_19wrapped_scan_configINS0_14default_configEsEEPKsPsSt10multipliesIsEssNS1_19lookback_scan_stateIsLb1ELb1EEEEEvT2_T3_mT5_T4_T7_jPT6_SK_bb,comdat
	.protected	_ZN7rocprim17ROCPRIM_304000_NS6detail20lookback_scan_kernelILNS1_25lookback_scan_determinismE0ELb0ENS1_19wrapped_scan_configINS0_14default_configEsEEPKsPsSt10multipliesIsEssNS1_19lookback_scan_stateIsLb1ELb1EEEEEvT2_T3_mT5_T4_T7_jPT6_SK_bb ; -- Begin function _ZN7rocprim17ROCPRIM_304000_NS6detail20lookback_scan_kernelILNS1_25lookback_scan_determinismE0ELb0ENS1_19wrapped_scan_configINS0_14default_configEsEEPKsPsSt10multipliesIsEssNS1_19lookback_scan_stateIsLb1ELb1EEEEEvT2_T3_mT5_T4_T7_jPT6_SK_bb
	.globl	_ZN7rocprim17ROCPRIM_304000_NS6detail20lookback_scan_kernelILNS1_25lookback_scan_determinismE0ELb0ENS1_19wrapped_scan_configINS0_14default_configEsEEPKsPsSt10multipliesIsEssNS1_19lookback_scan_stateIsLb1ELb1EEEEEvT2_T3_mT5_T4_T7_jPT6_SK_bb
	.p2align	8
	.type	_ZN7rocprim17ROCPRIM_304000_NS6detail20lookback_scan_kernelILNS1_25lookback_scan_determinismE0ELb0ENS1_19wrapped_scan_configINS0_14default_configEsEEPKsPsSt10multipliesIsEssNS1_19lookback_scan_stateIsLb1ELb1EEEEEvT2_T3_mT5_T4_T7_jPT6_SK_bb,@function
_ZN7rocprim17ROCPRIM_304000_NS6detail20lookback_scan_kernelILNS1_25lookback_scan_determinismE0ELb0ENS1_19wrapped_scan_configINS0_14default_configEsEEPKsPsSt10multipliesIsEssNS1_19lookback_scan_stateIsLb1ELb1EEEEEvT2_T3_mT5_T4_T7_jPT6_SK_bb: ; @_ZN7rocprim17ROCPRIM_304000_NS6detail20lookback_scan_kernelILNS1_25lookback_scan_determinismE0ELb0ENS1_19wrapped_scan_configINS0_14default_configEsEEPKsPsSt10multipliesIsEssNS1_19lookback_scan_stateIsLb1ELb1EEEEEvT2_T3_mT5_T4_T7_jPT6_SK_bb
; %bb.0:
	s_endpgm
	.section	.rodata,"a",@progbits
	.p2align	6, 0x0
	.amdhsa_kernel _ZN7rocprim17ROCPRIM_304000_NS6detail20lookback_scan_kernelILNS1_25lookback_scan_determinismE0ELb0ENS1_19wrapped_scan_configINS0_14default_configEsEEPKsPsSt10multipliesIsEssNS1_19lookback_scan_stateIsLb1ELb1EEEEEvT2_T3_mT5_T4_T7_jPT6_SK_bb
		.amdhsa_group_segment_fixed_size 0
		.amdhsa_private_segment_fixed_size 0
		.amdhsa_kernarg_size 68
		.amdhsa_user_sgpr_count 15
		.amdhsa_user_sgpr_dispatch_ptr 0
		.amdhsa_user_sgpr_queue_ptr 0
		.amdhsa_user_sgpr_kernarg_segment_ptr 1
		.amdhsa_user_sgpr_dispatch_id 0
		.amdhsa_user_sgpr_private_segment_size 0
		.amdhsa_wavefront_size32 1
		.amdhsa_uses_dynamic_stack 0
		.amdhsa_enable_private_segment 0
		.amdhsa_system_sgpr_workgroup_id_x 1
		.amdhsa_system_sgpr_workgroup_id_y 0
		.amdhsa_system_sgpr_workgroup_id_z 0
		.amdhsa_system_sgpr_workgroup_info 0
		.amdhsa_system_vgpr_workitem_id 0
		.amdhsa_next_free_vgpr 1
		.amdhsa_next_free_sgpr 1
		.amdhsa_reserve_vcc 0
		.amdhsa_float_round_mode_32 0
		.amdhsa_float_round_mode_16_64 0
		.amdhsa_float_denorm_mode_32 3
		.amdhsa_float_denorm_mode_16_64 3
		.amdhsa_dx10_clamp 1
		.amdhsa_ieee_mode 1
		.amdhsa_fp16_overflow 0
		.amdhsa_workgroup_processor_mode 1
		.amdhsa_memory_ordered 1
		.amdhsa_forward_progress 0
		.amdhsa_shared_vgpr_count 0
		.amdhsa_exception_fp_ieee_invalid_op 0
		.amdhsa_exception_fp_denorm_src 0
		.amdhsa_exception_fp_ieee_div_zero 0
		.amdhsa_exception_fp_ieee_overflow 0
		.amdhsa_exception_fp_ieee_underflow 0
		.amdhsa_exception_fp_ieee_inexact 0
		.amdhsa_exception_int_div_zero 0
	.end_amdhsa_kernel
	.section	.text._ZN7rocprim17ROCPRIM_304000_NS6detail20lookback_scan_kernelILNS1_25lookback_scan_determinismE0ELb0ENS1_19wrapped_scan_configINS0_14default_configEsEEPKsPsSt10multipliesIsEssNS1_19lookback_scan_stateIsLb1ELb1EEEEEvT2_T3_mT5_T4_T7_jPT6_SK_bb,"axG",@progbits,_ZN7rocprim17ROCPRIM_304000_NS6detail20lookback_scan_kernelILNS1_25lookback_scan_determinismE0ELb0ENS1_19wrapped_scan_configINS0_14default_configEsEEPKsPsSt10multipliesIsEssNS1_19lookback_scan_stateIsLb1ELb1EEEEEvT2_T3_mT5_T4_T7_jPT6_SK_bb,comdat
.Lfunc_end38:
	.size	_ZN7rocprim17ROCPRIM_304000_NS6detail20lookback_scan_kernelILNS1_25lookback_scan_determinismE0ELb0ENS1_19wrapped_scan_configINS0_14default_configEsEEPKsPsSt10multipliesIsEssNS1_19lookback_scan_stateIsLb1ELb1EEEEEvT2_T3_mT5_T4_T7_jPT6_SK_bb, .Lfunc_end38-_ZN7rocprim17ROCPRIM_304000_NS6detail20lookback_scan_kernelILNS1_25lookback_scan_determinismE0ELb0ENS1_19wrapped_scan_configINS0_14default_configEsEEPKsPsSt10multipliesIsEssNS1_19lookback_scan_stateIsLb1ELb1EEEEEvT2_T3_mT5_T4_T7_jPT6_SK_bb
                                        ; -- End function
	.section	.AMDGPU.csdata,"",@progbits
; Kernel info:
; codeLenInByte = 4
; NumSgprs: 0
; NumVgprs: 0
; ScratchSize: 0
; MemoryBound: 0
; FloatMode: 240
; IeeeMode: 1
; LDSByteSize: 0 bytes/workgroup (compile time only)
; SGPRBlocks: 0
; VGPRBlocks: 0
; NumSGPRsForWavesPerEU: 1
; NumVGPRsForWavesPerEU: 1
; Occupancy: 16
; WaveLimiterHint : 0
; COMPUTE_PGM_RSRC2:SCRATCH_EN: 0
; COMPUTE_PGM_RSRC2:USER_SGPR: 15
; COMPUTE_PGM_RSRC2:TRAP_HANDLER: 0
; COMPUTE_PGM_RSRC2:TGID_X_EN: 1
; COMPUTE_PGM_RSRC2:TGID_Y_EN: 0
; COMPUTE_PGM_RSRC2:TGID_Z_EN: 0
; COMPUTE_PGM_RSRC2:TIDIG_COMP_CNT: 0
	.section	.text._ZN7rocprim17ROCPRIM_304000_NS6detail20lookback_scan_kernelILNS1_25lookback_scan_determinismE0ELb0ENS1_19wrapped_scan_configINS0_14default_configEsEEPKsPsSt10multipliesIsEssNS1_19lookback_scan_stateIsLb0ELb1EEEEEvT2_T3_mT5_T4_T7_jPT6_SK_bb,"axG",@progbits,_ZN7rocprim17ROCPRIM_304000_NS6detail20lookback_scan_kernelILNS1_25lookback_scan_determinismE0ELb0ENS1_19wrapped_scan_configINS0_14default_configEsEEPKsPsSt10multipliesIsEssNS1_19lookback_scan_stateIsLb0ELb1EEEEEvT2_T3_mT5_T4_T7_jPT6_SK_bb,comdat
	.protected	_ZN7rocprim17ROCPRIM_304000_NS6detail20lookback_scan_kernelILNS1_25lookback_scan_determinismE0ELb0ENS1_19wrapped_scan_configINS0_14default_configEsEEPKsPsSt10multipliesIsEssNS1_19lookback_scan_stateIsLb0ELb1EEEEEvT2_T3_mT5_T4_T7_jPT6_SK_bb ; -- Begin function _ZN7rocprim17ROCPRIM_304000_NS6detail20lookback_scan_kernelILNS1_25lookback_scan_determinismE0ELb0ENS1_19wrapped_scan_configINS0_14default_configEsEEPKsPsSt10multipliesIsEssNS1_19lookback_scan_stateIsLb0ELb1EEEEEvT2_T3_mT5_T4_T7_jPT6_SK_bb
	.globl	_ZN7rocprim17ROCPRIM_304000_NS6detail20lookback_scan_kernelILNS1_25lookback_scan_determinismE0ELb0ENS1_19wrapped_scan_configINS0_14default_configEsEEPKsPsSt10multipliesIsEssNS1_19lookback_scan_stateIsLb0ELb1EEEEEvT2_T3_mT5_T4_T7_jPT6_SK_bb
	.p2align	8
	.type	_ZN7rocprim17ROCPRIM_304000_NS6detail20lookback_scan_kernelILNS1_25lookback_scan_determinismE0ELb0ENS1_19wrapped_scan_configINS0_14default_configEsEEPKsPsSt10multipliesIsEssNS1_19lookback_scan_stateIsLb0ELb1EEEEEvT2_T3_mT5_T4_T7_jPT6_SK_bb,@function
_ZN7rocprim17ROCPRIM_304000_NS6detail20lookback_scan_kernelILNS1_25lookback_scan_determinismE0ELb0ENS1_19wrapped_scan_configINS0_14default_configEsEEPKsPsSt10multipliesIsEssNS1_19lookback_scan_stateIsLb0ELb1EEEEEvT2_T3_mT5_T4_T7_jPT6_SK_bb: ; @_ZN7rocprim17ROCPRIM_304000_NS6detail20lookback_scan_kernelILNS1_25lookback_scan_determinismE0ELb0ENS1_19wrapped_scan_configINS0_14default_configEsEEPKsPsSt10multipliesIsEssNS1_19lookback_scan_stateIsLb0ELb1EEEEEvT2_T3_mT5_T4_T7_jPT6_SK_bb
; %bb.0:
	s_clause 0x2
	s_load_b32 s4, s[0:1], 0x28
	s_load_b64 s[2:3], s[0:1], 0x10
	s_load_b128 s[8:11], s[0:1], 0x0
	s_mov_b32 s5, 0
	v_lshlrev_b32_e32 v15, 1, v0
	s_waitcnt lgkmcnt(0)
	s_add_i32 s4, s4, -1
	s_delay_alu instid0(SALU_CYCLE_1) | instskip(NEXT) | instid1(SALU_CYCLE_1)
	s_mul_i32 s6, s4, 0x580
	s_sub_u32 s14, s2, s6
	s_subb_u32 s16, s3, 0
	s_cmp_lg_u32 s15, s4
	s_mul_i32 s4, s15, 0x580
	s_cselect_b32 s17, -1, 0
	s_lshl_b64 s[12:13], s[4:5], 1
	s_mov_b32 s3, -1
	s_add_u32 s4, s8, s12
	s_addc_u32 s5, s9, s13
	s_and_b32 vcc_lo, exec_lo, s17
	s_cbranch_vccz .LBB39_2
; %bb.1:
	s_clause 0x15
	global_load_u16 v1, v15, s[4:5]
	global_load_u16 v2, v15, s[4:5] offset:128
	global_load_u16 v3, v15, s[4:5] offset:256
	;; [unrolled: 1-line block ×21, first 2 shown]
	s_mov_b32 s3, 0
	s_waitcnt vmcnt(21)
	ds_store_b16 v15, v1
	s_waitcnt vmcnt(20)
	ds_store_b16 v15, v2 offset:128
	s_waitcnt vmcnt(19)
	ds_store_b16 v15, v3 offset:256
	;; [unrolled: 2-line block ×21, first 2 shown]
	s_waitcnt lgkmcnt(0)
	s_barrier
.LBB39_2:
	v_cmp_gt_u32_e64 s2, s14, v0
	s_and_not1_b32 vcc_lo, exec_lo, s3
	s_cbranch_vccnz .LBB39_48
; %bb.3:
	v_mov_b32_e32 v1, 0
	global_load_u16 v3, v1, s[4:5]
	v_add_co_u32 v1, s3, s4, v15
	s_delay_alu instid0(VALU_DEP_1)
	v_add_co_ci_u32_e64 v2, null, s5, 0, s3
	s_waitcnt vmcnt(0)
	v_mov_b32_e32 v4, v3
	s_and_saveexec_b32 s3, s2
	s_cbranch_execz .LBB39_5
; %bb.4:
	global_load_u16 v4, v[1:2], off
.LBB39_5:
	s_or_b32 exec_lo, exec_lo, s3
	v_or_b32_e32 v5, 64, v0
	s_delay_alu instid0(VALU_DEP_1)
	v_cmp_gt_u32_e32 vcc_lo, s14, v5
	v_mov_b32_e32 v5, v3
	s_and_saveexec_b32 s2, vcc_lo
	s_cbranch_execz .LBB39_7
; %bb.6:
	global_load_u16 v5, v[1:2], off offset:128
.LBB39_7:
	s_or_b32 exec_lo, exec_lo, s2
	v_or_b32_e32 v6, 0x80, v0
	s_delay_alu instid0(VALU_DEP_1)
	v_cmp_gt_u32_e32 vcc_lo, s14, v6
	v_mov_b32_e32 v6, v3
	s_and_saveexec_b32 s2, vcc_lo
	s_cbranch_execz .LBB39_9
; %bb.8:
	global_load_u16 v6, v[1:2], off offset:256
.LBB39_9:
	;; [unrolled: 10-line block ×20, first 2 shown]
	s_or_b32 exec_lo, exec_lo, s2
	v_or_b32_e32 v26, 0x540, v0
	s_mov_b32 s2, exec_lo
	s_delay_alu instid0(VALU_DEP_1)
	v_cmpx_gt_u32_e64 s14, v26
	s_cbranch_execz .LBB39_47
; %bb.46:
	global_load_u16 v3, v[1:2], off offset:2688
.LBB39_47:
	s_or_b32 exec_lo, exec_lo, s2
	s_waitcnt vmcnt(0)
	ds_store_b16 v15, v4
	ds_store_b16 v15, v5 offset:128
	ds_store_b16 v15, v6 offset:256
	;; [unrolled: 1-line block ×21, first 2 shown]
	s_waitcnt lgkmcnt(0)
	s_barrier
.LBB39_48:
	v_mul_u32_u24_e32 v16, 22, v0
	buffer_gl0_inv
	s_load_b64 s[8:9], s[0:1], 0x20
	v_lshrrev_b32_e32 v30, 5, v0
	v_cmp_gt_u32_e32 vcc_lo, 32, v0
	v_lshlrev_b32_e32 v17, 1, v16
	s_cmp_lg_u32 s15, 0
	ds_load_2addr_b32 v[9:10], v17 offset1:1
	ds_load_2addr_b32 v[7:8], v17 offset0:2 offset1:3
	ds_load_2addr_b32 v[5:6], v17 offset0:4 offset1:5
	ds_load_2addr_b32 v[3:4], v17 offset0:6 offset1:7
	ds_load_2addr_b32 v[1:2], v17 offset0:8 offset1:9
	ds_load_b32 v18, v17 offset:40
	s_waitcnt lgkmcnt(0)
	s_barrier
	buffer_gl0_inv
	v_lshrrev_b32_e32 v29, 16, v9
	v_lshrrev_b32_e32 v28, 16, v10
	;; [unrolled: 1-line block ×11, first 2 shown]
	s_cbranch_scc0 .LBB39_73
; %bb.49:
	v_mul_lo_u16 v11, v29, v9
	v_add_lshl_u32 v12, v30, v0, 1
	s_delay_alu instid0(VALU_DEP_2) | instskip(NEXT) | instid1(VALU_DEP_1)
	v_mul_lo_u16 v11, v11, v10
	v_mul_lo_u16 v11, v11, v28
	s_delay_alu instid0(VALU_DEP_1) | instskip(NEXT) | instid1(VALU_DEP_1)
	v_mul_lo_u16 v11, v11, v7
	v_mul_lo_u16 v11, v11, v27
	s_delay_alu instid0(VALU_DEP_1) | instskip(NEXT) | instid1(VALU_DEP_1)
	;; [unrolled: 3-line block ×9, first 2 shown]
	v_mul_lo_u16 v11, v11, v18
	v_mul_lo_u16 v11, v11, v19
	ds_store_b16 v12, v11
	s_waitcnt lgkmcnt(0)
	s_barrier
	buffer_gl0_inv
	s_and_saveexec_b32 s3, vcc_lo
	s_cbranch_execz .LBB39_51
; %bb.50:
	v_lshrrev_b32_e32 v12, 3, v0
	v_mbcnt_lo_u32_b32 v34, -1, 0
	s_delay_alu instid0(VALU_DEP_2) | instskip(NEXT) | instid1(VALU_DEP_2)
	v_and_b32_e32 v12, 6, v12
	v_and_b32_e32 v35, 15, v34
	s_delay_alu instid0(VALU_DEP_2) | instskip(NEXT) | instid1(VALU_DEP_2)
	v_lshl_or_b32 v12, v0, 2, v12
	v_cmp_eq_u32_e64 s2, 0, v35
	ds_load_u16 v13, v12
	ds_load_u16 v14, v12 offset:2
	s_waitcnt lgkmcnt(0)
	v_mul_lo_u16 v31, v14, v13
	s_delay_alu instid0(VALU_DEP_1) | instskip(NEXT) | instid1(VALU_DEP_1)
	v_and_b32_e32 v32, 0xffff, v31
	v_mov_b32_dpp v33, v32 row_shr:1 row_mask:0xf bank_mask:0xf
	s_delay_alu instid0(VALU_DEP_1) | instskip(NEXT) | instid1(VALU_DEP_1)
	v_mul_lo_u16 v33, v31, v33
	v_and_b32_e32 v36, 0xffff, v33
	v_cndmask_b32_e64 v31, v33, v31, s2
	s_delay_alu instid0(VALU_DEP_2) | instskip(SKIP_1) | instid1(VALU_DEP_2)
	v_cndmask_b32_e64 v32, v36, v32, s2
	v_cmp_lt_u32_e64 s2, 1, v35
	v_mov_b32_dpp v33, v32 row_shr:2 row_mask:0xf bank_mask:0xf
	s_delay_alu instid0(VALU_DEP_1) | instskip(NEXT) | instid1(VALU_DEP_1)
	v_mul_lo_u16 v33, v31, v33
	v_and_b32_e32 v36, 0xffff, v33
	s_delay_alu instid0(VALU_DEP_4) | instskip(NEXT) | instid1(VALU_DEP_2)
	v_cndmask_b32_e64 v31, v31, v33, s2
	v_cndmask_b32_e64 v32, v32, v36, s2
	v_cmp_lt_u32_e64 s2, 3, v35
	s_delay_alu instid0(VALU_DEP_2) | instskip(NEXT) | instid1(VALU_DEP_1)
	v_mov_b32_dpp v33, v32 row_shr:4 row_mask:0xf bank_mask:0xf
	v_mul_lo_u16 v33, v31, v33
	s_delay_alu instid0(VALU_DEP_1) | instskip(NEXT) | instid1(VALU_DEP_4)
	v_and_b32_e32 v36, 0xffff, v33
	v_cndmask_b32_e64 v31, v31, v33, s2
	s_delay_alu instid0(VALU_DEP_2) | instskip(SKIP_2) | instid1(VALU_DEP_3)
	v_cndmask_b32_e64 v32, v32, v36, s2
	v_cmp_lt_u32_e64 s2, 7, v35
	v_and_b32_e32 v35, 16, v34
	v_mov_b32_dpp v33, v32 row_shr:8 row_mask:0xf bank_mask:0xf
	s_delay_alu instid0(VALU_DEP_1) | instskip(NEXT) | instid1(VALU_DEP_1)
	v_mul_lo_u16 v33, v31, v33
	v_and_b32_e32 v36, 0xffff, v33
	v_cndmask_b32_e64 v31, v31, v33, s2
	v_add_nc_u32_e32 v33, -1, v34
	s_delay_alu instid0(VALU_DEP_3)
	v_cndmask_b32_e64 v32, v32, v36, s2
	v_cmp_ne_u32_e64 s2, 0, v35
	ds_swizzle_b32 v32, v32 offset:swizzle(BROADCAST,32,15)
	s_waitcnt lgkmcnt(0)
	v_cndmask_b32_e64 v32, 1, v32, s2
	v_cmp_gt_i32_e64 s2, 0, v33
	s_delay_alu instid0(VALU_DEP_2) | instskip(NEXT) | instid1(VALU_DEP_2)
	v_mul_lo_u16 v31, v31, v32
	v_cndmask_b32_e64 v32, v33, v34, s2
	v_cmp_eq_u32_e64 s2, 0, v0
	s_delay_alu instid0(VALU_DEP_3) | instskip(NEXT) | instid1(VALU_DEP_3)
	v_and_b32_e32 v31, 0xffff, v31
	v_lshlrev_b32_e32 v32, 2, v32
	ds_bpermute_b32 v31, v32, v31
	s_waitcnt lgkmcnt(0)
	v_mul_lo_u16 v13, v13, v31
	s_delay_alu instid0(VALU_DEP_1) | instskip(NEXT) | instid1(VALU_DEP_1)
	v_cndmask_b32_e64 v11, v13, v11, s2
	v_mul_lo_u16 v13, v11, v14
	ds_store_b16 v12, v11
	ds_store_b16 v12, v13 offset:2
.LBB39_51:
	s_or_b32 exec_lo, exec_lo, s3
	v_cmp_eq_u32_e64 s2, 0, v0
	v_mov_b32_e32 v31, 1
	s_mov_b32 s4, exec_lo
	s_waitcnt lgkmcnt(0)
	s_barrier
	buffer_gl0_inv
	v_cmpx_ne_u32_e32 0, v0
	s_cbranch_execz .LBB39_53
; %bb.52:
	v_add_nc_u32_e32 v11, -1, v0
	s_delay_alu instid0(VALU_DEP_1) | instskip(NEXT) | instid1(VALU_DEP_1)
	v_lshrrev_b32_e32 v12, 5, v11
	v_add_lshl_u32 v11, v12, v11, 1
	ds_load_u16 v31, v11
.LBB39_53:
	s_or_b32 exec_lo, exec_lo, s4
	s_and_saveexec_b32 s18, vcc_lo
	s_cbranch_execz .LBB39_72
; %bb.54:
	v_mov_b32_e32 v13, 0
	v_mbcnt_lo_u32_b32 v14, -1, 0
	s_mov_b32 s5, 0
	ds_load_u16 v32, v13 offset:128
	v_cmp_eq_u32_e64 s3, 0, v14
	s_delay_alu instid0(VALU_DEP_1)
	s_and_saveexec_b32 s6, s3
	s_cbranch_execz .LBB39_56
; %bb.55:
	s_add_i32 s4, s15, 32
	s_waitcnt lgkmcnt(0)
	v_or_b32_e32 v11, 0x10000, v32
	s_lshl_b64 s[4:5], s[4:5], 2
	s_delay_alu instid0(SALU_CYCLE_1)
	s_add_u32 s4, s8, s4
	s_addc_u32 s5, s9, s5
	global_store_b32 v13, v11, s[4:5]
.LBB39_56:
	s_or_b32 exec_lo, exec_lo, s6
	v_xad_u32 v11, v14, -1, s15
	s_mov_b32 s4, exec_lo
	s_delay_alu instid0(VALU_DEP_1) | instskip(NEXT) | instid1(VALU_DEP_1)
	v_add_nc_u32_e32 v12, 32, v11
	v_lshlrev_b64 v[12:13], 2, v[12:13]
	s_delay_alu instid0(VALU_DEP_1) | instskip(NEXT) | instid1(VALU_DEP_2)
	v_add_co_u32 v12, vcc_lo, s8, v12
	v_add_co_ci_u32_e32 v13, vcc_lo, s9, v13, vcc_lo
	global_load_b32 v42, v[12:13], off glc
	s_waitcnt vmcnt(0)
	v_lshrrev_b32_e32 v33, 16, v42
	s_delay_alu instid0(VALU_DEP_1) | instskip(NEXT) | instid1(VALU_DEP_1)
	v_and_b32_e32 v34, 0xff, v33
	v_cmpx_eq_u16_e32 0, v34
	s_cbranch_execz .LBB39_60
; %bb.57:
	s_mov_b32 s5, 0
.LBB39_58:                              ; =>This Inner Loop Header: Depth=1
	global_load_b32 v42, v[12:13], off glc
	s_waitcnt vmcnt(0)
	v_lshrrev_b32_e32 v33, 16, v42
	s_delay_alu instid0(VALU_DEP_1) | instskip(NEXT) | instid1(VALU_DEP_1)
	v_and_b32_e32 v34, 0xff, v33
	v_cmp_ne_u16_e32 vcc_lo, 0, v34
	s_or_b32 s5, vcc_lo, s5
	s_delay_alu instid0(SALU_CYCLE_1)
	s_and_not1_b32 exec_lo, exec_lo, s5
	s_cbranch_execnz .LBB39_58
; %bb.59:
	s_or_b32 exec_lo, exec_lo, s5
.LBB39_60:
	s_delay_alu instid0(SALU_CYCLE_1)
	s_or_b32 exec_lo, exec_lo, s4
	v_cmp_ne_u32_e32 vcc_lo, 31, v14
	v_and_b32_e32 v36, 0xff, v33
	v_lshlrev_b32_e64 v35, v14, -1
	v_cmp_gt_u32_e64 s4, 30, v14
	v_cmp_gt_u32_e64 s5, 24, v14
	v_add_co_ci_u32_e32 v12, vcc_lo, 0, v14, vcc_lo
	v_cmp_eq_u16_e32 vcc_lo, 2, v36
	v_add_nc_u32_e32 v36, 1, v14
	v_cndmask_b32_e64 v37, 0, 1, s4
	v_cmp_gt_u32_e64 s4, 28, v14
	v_cmp_gt_u32_e64 s6, 16, v14
	v_and_or_b32 v38, vcc_lo, v35, 0x80000000
	s_delay_alu instid0(VALU_DEP_4) | instskip(NEXT) | instid1(VALU_DEP_4)
	v_lshlrev_b32_e32 v37, 1, v37
	v_cndmask_b32_e64 v39, 0, 1, s4
	s_delay_alu instid0(VALU_DEP_3) | instskip(NEXT) | instid1(VALU_DEP_3)
	v_ctz_i32_b32_e32 v46, v38
	v_add_lshl_u32 v37, v37, v14, 2
	s_delay_alu instid0(VALU_DEP_3) | instskip(NEXT) | instid1(VALU_DEP_3)
	v_lshlrev_b32_e32 v39, 2, v39
	v_cmp_le_u32_e32 vcc_lo, v36, v46
	v_and_b32_e32 v13, 0xffff, v42
	v_lshlrev_b32_e32 v34, 2, v12
	s_delay_alu instid0(VALU_DEP_4) | instskip(SKIP_3) | instid1(VALU_DEP_1)
	v_add_lshl_u32 v39, v39, v14, 2
	ds_bpermute_b32 v12, v34, v13
	s_waitcnt lgkmcnt(0)
	v_mul_lo_u16 v12, v12, v42
	v_and_b32_e32 v38, 0xffff, v12
	s_delay_alu instid0(VALU_DEP_1) | instskip(SKIP_4) | instid1(VALU_DEP_2)
	v_dual_cndmask_b32 v12, v42, v12 :: v_dual_cndmask_b32 v13, v13, v38
	ds_bpermute_b32 v38, v37, v13
	s_waitcnt lgkmcnt(0)
	v_mul_lo_u16 v40, v12, v38
	v_add_nc_u32_e32 v38, 2, v14
	v_and_b32_e32 v41, 0xffff, v40
	s_delay_alu instid0(VALU_DEP_2) | instskip(NEXT) | instid1(VALU_DEP_1)
	v_cmp_le_u32_e64 s4, v38, v46
	v_cndmask_b32_e64 v13, v13, v41, s4
	v_cndmask_b32_e64 v12, v12, v40, s4
	v_cndmask_b32_e64 v40, 0, 1, s5
	s_or_b32 s4, vcc_lo, s4
	ds_bpermute_b32 v41, v39, v13
	s_waitcnt lgkmcnt(0)
	v_mul_lo_u16 v43, v12, v41
	v_lshlrev_b32_e32 v41, 3, v40
	v_add_nc_u32_e32 v40, 4, v14
	s_delay_alu instid0(VALU_DEP_3) | instskip(NEXT) | instid1(VALU_DEP_3)
	v_and_b32_e32 v44, 0xffff, v43
	v_add_lshl_u32 v41, v41, v14, 2
	s_delay_alu instid0(VALU_DEP_3) | instskip(NEXT) | instid1(VALU_DEP_1)
	v_cmp_le_u32_e64 s5, v40, v46
	v_cndmask_b32_e64 v13, v13, v44, s5
	v_cndmask_b32_e64 v12, v12, v43, s5
	;; [unrolled: 1-line block ×3, first 2 shown]
	s_or_b32 s4, s5, s4
	ds_bpermute_b32 v44, v41, v13
	s_waitcnt lgkmcnt(0)
	v_mul_lo_u16 v47, v12, v44
	v_lshlrev_b32_e32 v44, 4, v43
	v_add_nc_u32_e32 v43, 8, v14
	s_delay_alu instid0(VALU_DEP_3) | instskip(NEXT) | instid1(VALU_DEP_3)
	v_and_b32_e32 v45, 0xffff, v47
	v_add_lshl_u32 v44, v44, v14, 2
	s_delay_alu instid0(VALU_DEP_3) | instskip(NEXT) | instid1(VALU_DEP_1)
	v_cmp_le_u32_e64 s6, v43, v46
	v_cndmask_b32_e64 v13, v13, v45, s6
	v_add_nc_u32_e32 v45, 16, v14
	v_cndmask_b32_e64 v12, v12, v47, s6
	s_or_b32 s4, s6, s4
	ds_bpermute_b32 v13, v44, v13
	v_cmp_le_u32_e64 s7, v45, v46
	s_delay_alu instid0(VALU_DEP_1) | instskip(SKIP_2) | instid1(VALU_DEP_1)
	s_or_b32 vcc_lo, s7, s4
	s_waitcnt lgkmcnt(0)
	v_cndmask_b32_e64 v13, 1, v13, s7
	v_mul_lo_u16 v12, v12, v13
	s_delay_alu instid0(VALU_DEP_1)
	v_dual_cndmask_b32 v13, v42, v12 :: v_dual_mov_b32 v12, 0
	s_branch .LBB39_62
.LBB39_61:                              ;   in Loop: Header=BB39_62 Depth=1
	s_or_b32 exec_lo, exec_lo, s4
	v_and_b32_e32 v13, 0xffff, v46
	v_subrev_nc_u32_e32 v11, 32, v11
	ds_bpermute_b32 v14, v34, v13
	s_waitcnt lgkmcnt(0)
	v_mul_lo_u16 v14, v14, v46
	v_and_b32_e32 v47, 0xff, v33
	s_delay_alu instid0(VALU_DEP_2) | instskip(NEXT) | instid1(VALU_DEP_2)
	v_and_b32_e32 v48, 0xffff, v14
	v_cmp_eq_u16_e32 vcc_lo, 2, v47
	v_and_or_b32 v47, vcc_lo, v35, 0x80000000
	s_delay_alu instid0(VALU_DEP_1) | instskip(NEXT) | instid1(VALU_DEP_1)
	v_ctz_i32_b32_e32 v47, v47
	v_cmp_le_u32_e32 vcc_lo, v36, v47
	v_cmp_le_u32_e64 s4, v38, v47
	v_cmp_le_u32_e64 s5, v40, v47
	;; [unrolled: 1-line block ×4, first 2 shown]
	v_dual_cndmask_b32 v13, v13, v48 :: v_dual_cndmask_b32 v14, v46, v14
	ds_bpermute_b32 v48, v37, v13
	s_waitcnt lgkmcnt(0)
	v_mul_lo_u16 v48, v14, v48
	s_delay_alu instid0(VALU_DEP_1) | instskip(SKIP_1) | instid1(VALU_DEP_2)
	v_and_b32_e32 v49, 0xffff, v48
	v_cndmask_b32_e64 v14, v14, v48, s4
	v_cndmask_b32_e64 v13, v13, v49, s4
	s_or_b32 s4, vcc_lo, s4
	s_delay_alu instid0(SALU_CYCLE_1) | instskip(SKIP_2) | instid1(SALU_CYCLE_1)
	s_or_b32 s4, s5, s4
	ds_bpermute_b32 v49, v39, v13
	s_or_b32 s4, s6, s4
	s_or_b32 vcc_lo, s7, s4
	s_waitcnt lgkmcnt(0)
	v_mul_lo_u16 v48, v14, v49
	s_delay_alu instid0(VALU_DEP_1) | instskip(SKIP_1) | instid1(VALU_DEP_2)
	v_and_b32_e32 v49, 0xffff, v48
	v_cndmask_b32_e64 v14, v14, v48, s5
	v_cndmask_b32_e64 v13, v13, v49, s5
	ds_bpermute_b32 v49, v41, v13
	s_waitcnt lgkmcnt(0)
	v_mul_lo_u16 v48, v14, v49
	s_delay_alu instid0(VALU_DEP_1) | instskip(SKIP_1) | instid1(VALU_DEP_2)
	v_and_b32_e32 v49, 0xffff, v48
	v_cndmask_b32_e64 v14, v14, v48, s6
	v_cndmask_b32_e64 v13, v13, v49, s6
	ds_bpermute_b32 v13, v44, v13
	s_waitcnt lgkmcnt(0)
	v_cndmask_b32_e64 v13, 1, v13, s7
	s_delay_alu instid0(VALU_DEP_1) | instskip(NEXT) | instid1(VALU_DEP_1)
	v_mul_lo_u16 v13, v14, v13
	v_cndmask_b32_e32 v13, v46, v13, vcc_lo
	s_delay_alu instid0(VALU_DEP_1)
	v_mul_lo_u16 v13, v13, v42
.LBB39_62:                              ; =>This Loop Header: Depth=1
                                        ;     Child Loop BB39_65 Depth 2
	v_and_b32_e32 v14, 0xff, v33
	s_delay_alu instid0(VALU_DEP_2) | instskip(NEXT) | instid1(VALU_DEP_2)
	v_mov_b32_e32 v42, v13
	v_cmp_ne_u16_e32 vcc_lo, 2, v14
	v_cndmask_b32_e64 v14, 0, 1, vcc_lo
	;;#ASMSTART
	;;#ASMEND
	s_delay_alu instid0(VALU_DEP_1)
	v_cmp_ne_u32_e32 vcc_lo, 0, v14
	s_cmp_lg_u32 vcc_lo, exec_lo
	s_cbranch_scc1 .LBB39_67
; %bb.63:                               ;   in Loop: Header=BB39_62 Depth=1
	v_lshlrev_b64 v[13:14], 2, v[11:12]
	s_mov_b32 s4, exec_lo
	s_delay_alu instid0(VALU_DEP_1) | instskip(NEXT) | instid1(VALU_DEP_2)
	v_add_co_u32 v13, vcc_lo, s8, v13
	v_add_co_ci_u32_e32 v14, vcc_lo, s9, v14, vcc_lo
	global_load_b32 v46, v[13:14], off glc
	s_waitcnt vmcnt(0)
	v_lshrrev_b32_e32 v33, 16, v46
	s_delay_alu instid0(VALU_DEP_1) | instskip(NEXT) | instid1(VALU_DEP_1)
	v_and_b32_e32 v47, 0xff, v33
	v_cmpx_eq_u16_e32 0, v47
	s_cbranch_execz .LBB39_61
; %bb.64:                               ;   in Loop: Header=BB39_62 Depth=1
	s_mov_b32 s5, 0
.LBB39_65:                              ;   Parent Loop BB39_62 Depth=1
                                        ; =>  This Inner Loop Header: Depth=2
	global_load_b32 v46, v[13:14], off glc
	s_waitcnt vmcnt(0)
	v_lshrrev_b32_e32 v33, 16, v46
	s_delay_alu instid0(VALU_DEP_1) | instskip(NEXT) | instid1(VALU_DEP_1)
	v_and_b32_e32 v47, 0xff, v33
	v_cmp_ne_u16_e32 vcc_lo, 0, v47
	s_or_b32 s5, vcc_lo, s5
	s_delay_alu instid0(SALU_CYCLE_1)
	s_and_not1_b32 exec_lo, exec_lo, s5
	s_cbranch_execnz .LBB39_65
; %bb.66:                               ;   in Loop: Header=BB39_62 Depth=1
	s_or_b32 exec_lo, exec_lo, s5
	s_branch .LBB39_61
.LBB39_67:                              ;   in Loop: Header=BB39_62 Depth=1
                                        ; implicit-def: $vgpr13
                                        ; implicit-def: $vgpr33
	s_cbranch_execz .LBB39_62
; %bb.68:
	s_and_saveexec_b32 s4, s3
	s_cbranch_execz .LBB39_70
; %bb.69:
	v_mul_lo_u16 v11, v42, v32
	s_add_i32 s6, s15, 32
	s_mov_b32 s7, 0
	v_mov_b32_e32 v12, 0
	s_lshl_b64 s[6:7], s[6:7], 2
	v_and_b32_e32 v11, 0xffff, v11
	s_add_u32 s6, s8, s6
	s_addc_u32 s7, s9, s7
	s_delay_alu instid0(VALU_DEP_1)
	v_or_b32_e32 v11, 0x20000, v11
	global_store_b32 v12, v11, s[6:7]
.LBB39_70:
	s_or_b32 exec_lo, exec_lo, s4
	s_delay_alu instid0(SALU_CYCLE_1)
	s_and_b32 exec_lo, exec_lo, s2
	s_cbranch_execz .LBB39_72
; %bb.71:
	v_mov_b32_e32 v11, 0
	ds_store_b16 v11, v42
.LBB39_72:
	s_or_b32 exec_lo, exec_lo, s18
	v_mov_b32_e32 v11, 0
	s_waitcnt lgkmcnt(0)
	s_waitcnt_vscnt null, 0x0
	s_barrier
	buffer_gl0_inv
	v_mul_lo_u16 v12, v31, v9
	ds_load_u16 v11, v11
	s_waitcnt lgkmcnt(0)
	v_mul_lo_u16 v11, v12, v11
	s_load_b128 s[4:7], s[0:1], 0x30
	s_branch .LBB39_83
.LBB39_73:
                                        ; implicit-def: $vgpr11
	s_load_b128 s[4:7], s[0:1], 0x30
	s_cbranch_execz .LBB39_83
; %bb.74:
	s_load_b32 s2, s[0:1], 0x40
	v_cmp_eq_u32_e32 vcc_lo, 0, v0
	s_waitcnt lgkmcnt(0)
	s_bitcmp1_b32 s2, 0
	v_cmp_ne_u32_e64 s2, 0, v0
	s_cselect_b32 s3, -1, 0
	s_delay_alu instid0(SALU_CYCLE_1) | instskip(NEXT) | instid1(SALU_CYCLE_1)
	s_and_b32 s15, vcc_lo, s3
	s_and_saveexec_b32 s3, s15
	s_cbranch_execz .LBB39_76
; %bb.75:
	v_mov_b32_e32 v11, 0
	global_load_u16 v11, v11, s[4:5]
	s_waitcnt vmcnt(0)
	v_mul_lo_u16 v9, v11, v9
.LBB39_76:
	s_or_b32 exec_lo, exec_lo, s3
	v_mul_lo_u16 v11, v10, v29
	v_add_lshl_u32 v12, v30, v0, 1
	s_mov_b32 s4, exec_lo
	s_delay_alu instid0(VALU_DEP_2) | instskip(NEXT) | instid1(VALU_DEP_1)
	v_mul_lo_u16 v11, v11, v28
	v_mul_lo_u16 v11, v11, v7
	s_delay_alu instid0(VALU_DEP_1) | instskip(NEXT) | instid1(VALU_DEP_1)
	v_mul_lo_u16 v11, v11, v27
	v_mul_lo_u16 v11, v11, v8
	s_delay_alu instid0(VALU_DEP_1) | instskip(NEXT) | instid1(VALU_DEP_1)
	;; [unrolled: 3-line block ×9, first 2 shown]
	v_mul_lo_u16 v11, v11, v19
	v_mul_lo_u16 v11, v11, v9
	ds_store_b16 v12, v11
	s_waitcnt lgkmcnt(0)
	s_barrier
	buffer_gl0_inv
	v_cmpx_gt_u32_e32 32, v0
	s_cbranch_execz .LBB39_78
; %bb.77:
	v_lshrrev_b32_e32 v12, 3, v0
	v_mbcnt_lo_u32_b32 v33, -1, 0
	s_delay_alu instid0(VALU_DEP_2) | instskip(NEXT) | instid1(VALU_DEP_2)
	v_and_b32_e32 v12, 6, v12
	v_and_b32_e32 v34, 15, v33
	s_delay_alu instid0(VALU_DEP_2) | instskip(NEXT) | instid1(VALU_DEP_2)
	v_lshl_or_b32 v12, v0, 2, v12
	v_cmp_eq_u32_e64 s3, 0, v34
	ds_load_u16 v13, v12
	ds_load_u16 v14, v12 offset:2
	s_waitcnt lgkmcnt(0)
	v_mul_lo_u16 v30, v14, v13
	s_delay_alu instid0(VALU_DEP_1) | instskip(NEXT) | instid1(VALU_DEP_1)
	v_and_b32_e32 v31, 0xffff, v30
	v_mov_b32_dpp v32, v31 row_shr:1 row_mask:0xf bank_mask:0xf
	s_delay_alu instid0(VALU_DEP_1) | instskip(NEXT) | instid1(VALU_DEP_1)
	v_mul_lo_u16 v32, v30, v32
	v_and_b32_e32 v35, 0xffff, v32
	v_cndmask_b32_e64 v30, v32, v30, s3
	s_delay_alu instid0(VALU_DEP_2) | instskip(SKIP_1) | instid1(VALU_DEP_2)
	v_cndmask_b32_e64 v31, v35, v31, s3
	v_cmp_lt_u32_e64 s3, 1, v34
	v_mov_b32_dpp v32, v31 row_shr:2 row_mask:0xf bank_mask:0xf
	s_delay_alu instid0(VALU_DEP_1) | instskip(NEXT) | instid1(VALU_DEP_1)
	v_mul_lo_u16 v32, v30, v32
	v_and_b32_e32 v35, 0xffff, v32
	s_delay_alu instid0(VALU_DEP_4) | instskip(NEXT) | instid1(VALU_DEP_2)
	v_cndmask_b32_e64 v30, v30, v32, s3
	v_cndmask_b32_e64 v31, v31, v35, s3
	v_cmp_lt_u32_e64 s3, 3, v34
	s_delay_alu instid0(VALU_DEP_2) | instskip(NEXT) | instid1(VALU_DEP_1)
	v_mov_b32_dpp v32, v31 row_shr:4 row_mask:0xf bank_mask:0xf
	v_mul_lo_u16 v32, v30, v32
	s_delay_alu instid0(VALU_DEP_1) | instskip(NEXT) | instid1(VALU_DEP_4)
	v_and_b32_e32 v35, 0xffff, v32
	v_cndmask_b32_e64 v30, v30, v32, s3
	s_delay_alu instid0(VALU_DEP_2) | instskip(SKIP_2) | instid1(VALU_DEP_3)
	v_cndmask_b32_e64 v31, v31, v35, s3
	v_cmp_lt_u32_e64 s3, 7, v34
	v_and_b32_e32 v34, 16, v33
	v_mov_b32_dpp v32, v31 row_shr:8 row_mask:0xf bank_mask:0xf
	s_delay_alu instid0(VALU_DEP_1) | instskip(NEXT) | instid1(VALU_DEP_1)
	v_mul_lo_u16 v32, v30, v32
	v_and_b32_e32 v35, 0xffff, v32
	v_cndmask_b32_e64 v30, v30, v32, s3
	v_add_nc_u32_e32 v32, -1, v33
	s_delay_alu instid0(VALU_DEP_3)
	v_cndmask_b32_e64 v31, v31, v35, s3
	v_cmp_ne_u32_e64 s3, 0, v34
	ds_swizzle_b32 v31, v31 offset:swizzle(BROADCAST,32,15)
	s_waitcnt lgkmcnt(0)
	v_cndmask_b32_e64 v31, 1, v31, s3
	v_cmp_gt_i32_e64 s3, 0, v32
	s_delay_alu instid0(VALU_DEP_2) | instskip(NEXT) | instid1(VALU_DEP_2)
	v_mul_lo_u16 v30, v30, v31
	v_cndmask_b32_e64 v31, v32, v33, s3
	s_delay_alu instid0(VALU_DEP_2) | instskip(NEXT) | instid1(VALU_DEP_2)
	v_and_b32_e32 v30, 0xffff, v30
	v_lshlrev_b32_e32 v31, 2, v31
	ds_bpermute_b32 v30, v31, v30
	s_waitcnt lgkmcnt(0)
	v_mul_lo_u16 v13, v13, v30
	s_delay_alu instid0(VALU_DEP_1) | instskip(NEXT) | instid1(VALU_DEP_1)
	v_cndmask_b32_e32 v11, v13, v11, vcc_lo
	v_mul_lo_u16 v13, v11, v14
	ds_store_b16 v12, v11
	ds_store_b16 v12, v13 offset:2
.LBB39_78:
	s_or_b32 exec_lo, exec_lo, s4
	v_mov_b32_e32 v11, 1
	s_waitcnt lgkmcnt(0)
	s_barrier
	buffer_gl0_inv
	s_and_saveexec_b32 s3, s2
	s_cbranch_execz .LBB39_80
; %bb.79:
	v_add_nc_u32_e32 v11, -1, v0
	s_delay_alu instid0(VALU_DEP_1) | instskip(NEXT) | instid1(VALU_DEP_1)
	v_lshrrev_b32_e32 v12, 5, v11
	v_add_lshl_u32 v11, v12, v11, 1
	ds_load_u16 v11, v11
.LBB39_80:
	s_or_b32 exec_lo, exec_lo, s3
	s_and_saveexec_b32 s2, vcc_lo
	s_cbranch_execz .LBB39_82
; %bb.81:
	v_mov_b32_e32 v12, 0
	ds_load_u16 v13, v12 offset:128
	s_waitcnt lgkmcnt(0)
	v_or_b32_e32 v13, 0x20000, v13
	global_store_b32 v12, v13, s[8:9] offset:128
.LBB39_82:
	s_or_b32 exec_lo, exec_lo, s2
	s_waitcnt lgkmcnt(0)
	v_mul_lo_u16 v11, v11, v9
.LBB39_83:
	s_delay_alu instid0(VALU_DEP_1)
	v_mul_lo_u16 v9, v11, v29
	s_add_u32 s2, s10, s12
	s_addc_u32 s3, s11, s13
	s_and_b32 vcc_lo, exec_lo, s17
	s_waitcnt lgkmcnt(0)
	s_mov_b32 s4, -1
	v_mul_lo_u16 v10, v9, v10
	s_waitcnt_vscnt null, 0x0
	s_barrier
	buffer_gl0_inv
	v_mul_lo_u16 v12, v10, v28
	s_delay_alu instid0(VALU_DEP_1) | instskip(NEXT) | instid1(VALU_DEP_1)
	v_mul_lo_u16 v7, v12, v7
	v_mul_lo_u16 v13, v7, v27
	s_delay_alu instid0(VALU_DEP_1) | instskip(NEXT) | instid1(VALU_DEP_1)
	v_mul_lo_u16 v8, v13, v8
	;; [unrolled: 3-line block ×4, first 2 shown]
	v_mul_lo_u16 v6, v5, v24
	s_delay_alu instid0(VALU_DEP_1) | instskip(SKIP_3) | instid1(VALU_DEP_4)
	v_mul_lo_u16 v24, v6, v3
	v_perm_b32 v3, v13, v7, 0x5040100
	v_perm_b32 v5, v6, v5, 0x5040100
	;; [unrolled: 1-line block ×3, first 2 shown]
	v_mul_lo_u16 v23, v24, v23
	s_delay_alu instid0(VALU_DEP_1) | instskip(SKIP_2) | instid1(VALU_DEP_3)
	v_mul_lo_u16 v27, v23, v4
	v_perm_b32 v4, v14, v8, 0x5040100
	v_perm_b32 v8, v23, v24, 0x5040100
	v_mul_lo_u16 v22, v27, v22
	s_delay_alu instid0(VALU_DEP_1) | instskip(SKIP_2) | instid1(VALU_DEP_3)
	v_mul_lo_u16 v28, v22, v1
	v_perm_b32 v1, v9, v11, 0x5040100
	v_perm_b32 v7, v22, v27, 0x5040100
	v_mul_lo_u16 v21, v28, v21
	s_delay_alu instid0(VALU_DEP_1) | instskip(SKIP_2) | instid1(VALU_DEP_3)
	v_mul_lo_u16 v29, v21, v2
	v_perm_b32 v2, v12, v10, 0x5040100
	v_perm_b32 v10, v21, v28, 0x5040100
	v_mul_lo_u16 v20, v29, v20
	s_delay_alu instid0(VALU_DEP_1) | instskip(SKIP_1) | instid1(VALU_DEP_2)
	v_mul_lo_u16 v11, v20, v18
	v_perm_b32 v9, v20, v29, 0x5040100
	v_mul_lo_u16 v12, v11, v19
	s_delay_alu instid0(VALU_DEP_1)
	v_perm_b32 v11, v12, v11, 0x5040100
	s_cbranch_vccz .LBB39_85
; %bb.84:
	ds_store_2addr_b32 v17, v1, v2 offset1:1
	ds_store_2addr_b32 v17, v3, v4 offset0:2 offset1:3
	ds_store_2addr_b32 v17, v6, v5 offset0:4 offset1:5
	;; [unrolled: 1-line block ×4, first 2 shown]
	ds_store_b32 v17, v11 offset:40
	s_waitcnt lgkmcnt(0)
	s_barrier
	buffer_gl0_inv
	ds_load_u16 v12, v15
	ds_load_u16 v13, v15 offset:128
	ds_load_u16 v14, v15 offset:256
	;; [unrolled: 1-line block ×21, first 2 shown]
	s_mov_b32 s4, 0
	s_waitcnt lgkmcnt(21)
	global_store_b16 v15, v12, s[2:3]
	s_waitcnt lgkmcnt(20)
	global_store_b16 v15, v13, s[2:3] offset:128
	s_waitcnt lgkmcnt(19)
	global_store_b16 v15, v14, s[2:3] offset:256
	;; [unrolled: 2-line block ×21, first 2 shown]
.LBB39_85:
	s_and_not1_b32 vcc_lo, exec_lo, s4
	s_cbranch_vccnz .LBB39_212
; %bb.86:
	ds_store_2addr_b32 v17, v1, v2 offset1:1
	ds_store_2addr_b32 v17, v3, v4 offset0:2 offset1:3
	ds_store_2addr_b32 v17, v6, v5 offset0:4 offset1:5
	;; [unrolled: 1-line block ×4, first 2 shown]
	ds_store_b32 v17, v11 offset:40
	s_waitcnt lgkmcnt(0)
	s_waitcnt_vscnt null, 0x0
	s_barrier
	buffer_gl0_inv
	ds_load_u16 v5, v15
	ds_load_u16 v4, v15 offset:128
	ds_load_u16 v7, v15 offset:256
	;; [unrolled: 1-line block ×21, first 2 shown]
	v_add_co_u32 v2, s2, s2, v15
	v_mov_b32_e32 v1, 0
	v_add_co_ci_u32_e64 v3, null, s3, 0, s2
	s_mov_b32 s2, exec_lo
	v_cmpx_gt_u32_e64 s14, v0
	s_cbranch_execz .LBB39_88
; %bb.87:
	s_waitcnt lgkmcnt(21)
	global_store_b16 v[2:3], v5, off
.LBB39_88:
	s_or_b32 exec_lo, exec_lo, s2
	v_or_b32_e32 v15, 64, v0
	s_mov_b32 s2, exec_lo
	s_delay_alu instid0(VALU_DEP_1)
	v_cmpx_gt_u32_e64 s14, v15
	s_cbranch_execz .LBB39_90
; %bb.89:
	s_waitcnt lgkmcnt(20)
	global_store_b16 v[2:3], v4, off offset:128
.LBB39_90:
	s_or_b32 exec_lo, exec_lo, s2
	v_or_b32_e32 v15, 0x80, v0
	s_mov_b32 s2, exec_lo
	s_delay_alu instid0(VALU_DEP_1)
	v_cmpx_gt_u32_e64 s14, v15
	s_cbranch_execz .LBB39_92
; %bb.91:
	s_waitcnt lgkmcnt(19)
	global_store_b16 v[2:3], v7, off offset:256
.LBB39_92:
	;; [unrolled: 10-line block ×21, first 2 shown]
	s_or_b32 exec_lo, exec_lo, s2
	s_load_b32 s0, s[0:1], 0x40
	s_waitcnt lgkmcnt(0)
	s_bfe_u32 s0, s0, 0x10008
	s_delay_alu instid0(SALU_CYCLE_1)
	s_cmp_eq_u32 s0, 0
	s_cbranch_scc1 .LBB39_212
; %bb.131:
	s_add_u32 s0, s14, -1
	s_addc_u32 s1, s16, -1
	s_add_u32 s2, 0, 0x2e8b0a00
	s_addc_u32 s3, 0, 42
	s_mul_hi_u32 s5, s2, 0xffffffea
	s_add_i32 s3, s3, 0xba2e890
	s_sub_i32 s5, s5, s2
	s_mul_i32 s8, s3, 0xffffffea
	s_mul_i32 s4, s2, 0xffffffea
	s_add_i32 s5, s5, s8
	s_mul_hi_u32 s9, s3, s4
	s_mul_i32 s8, s3, s4
	s_mul_i32 s10, s2, s5
	s_mul_hi_u32 s4, s2, s4
	s_mul_hi_u32 s11, s2, s5
	s_add_u32 s4, s4, s10
	s_addc_u32 s10, 0, s11
	s_mul_hi_u32 s11, s3, s5
	s_add_u32 s4, s4, s8
	s_addc_u32 s4, s10, s9
	s_mul_i32 s5, s3, s5
	s_addc_u32 s8, s11, 0
	s_add_u32 s4, s4, s5
	s_delay_alu instid0(SALU_CYCLE_1) | instskip(SKIP_2) | instid1(VALU_DEP_1)
	v_add_co_u32 v2, s2, s2, s4
	s_addc_u32 s4, 0, s8
	s_cmp_lg_u32 s2, 0
	v_readfirstlane_b32 s2, v2
	s_addc_u32 s3, s3, s4
	s_delay_alu instid0(SALU_CYCLE_1) | instskip(SKIP_1) | instid1(VALU_DEP_1)
	s_mul_i32 s4, s0, s3
	s_mul_hi_u32 s8, s0, s3
	s_mul_hi_u32 s5, s0, s2
	s_mul_i32 s9, s1, s2
	s_add_u32 s4, s5, s4
	s_addc_u32 s5, 0, s8
	s_mul_hi_u32 s2, s1, s2
	s_mul_hi_u32 s8, s1, s3
	s_add_u32 s4, s4, s9
	s_addc_u32 s2, s5, s2
	s_mul_i32 s3, s1, s3
	s_addc_u32 s4, s8, 0
	s_add_u32 s2, s2, s3
	s_addc_u32 s3, 0, s4
	s_mul_i32 s5, s2, 22
	s_add_u32 s4, s2, 1
	v_sub_co_u32 v2, s5, s0, s5
	s_addc_u32 s8, s3, 0
	s_mul_i32 s10, s3, 22
	s_mul_hi_u32 s12, s2, 22
	s_delay_alu instid0(VALU_DEP_1)
	v_sub_co_u32 v3, s11, v2, 22
	s_add_u32 s9, s2, 2
	s_addc_u32 s13, s3, 0
	s_add_i32 s12, s12, s10
	s_cmp_lg_u32 s5, 0
	v_readfirstlane_b32 s5, v3
	s_subb_u32 s10, s1, s12
	s_cmp_lg_u32 s11, 0
	s_subb_u32 s11, s10, 0
	s_delay_alu instid0(VALU_DEP_1) | instskip(SKIP_4) | instid1(SALU_CYCLE_1)
	s_cmp_gt_u32 s5, 21
	s_cselect_b32 s5, -1, 0
	s_cmp_eq_u32 s11, 0
	v_readfirstlane_b32 s11, v2
	s_cselect_b32 s5, s5, -1
	s_cmp_lg_u32 s5, 0
	s_cselect_b32 s4, s9, s4
	s_cselect_b32 s5, s13, s8
	s_cmp_gt_u32 s11, 21
	s_cselect_b32 s8, -1, 0
	s_cmp_eq_u32 s10, 0
	s_cselect_b32 s8, s8, -1
	s_delay_alu instid0(SALU_CYCLE_1) | instskip(SKIP_2) | instid1(SALU_CYCLE_1)
	s_cmp_lg_u32 s8, 0
	s_cselect_b32 s3, s5, s3
	s_cselect_b32 s2, s4, s2
	v_cmp_eq_u64_e32 vcc_lo, s[2:3], v[0:1]
	s_and_saveexec_b32 s2, vcc_lo
	s_cbranch_execz .LBB39_212
; %bb.132:
	v_mul_hi_u32_u24_e32 v1, 22, v0
	v_sub_co_u32 v0, vcc_lo, s0, v16
	s_mov_b32 s0, 0
	s_mov_b32 s2, 0
	s_delay_alu instid0(VALU_DEP_2) | instskip(SKIP_1) | instid1(VALU_DEP_1)
	v_sub_co_ci_u32_e32 v1, vcc_lo, s1, v1, vcc_lo
	s_mov_b32 s1, exec_lo
	v_cmpx_lt_i64_e32 10, v[0:1]
	s_xor_b32 s1, exec_lo, s1
	s_cbranch_execnz .LBB39_136
; %bb.133:
	s_or_saveexec_b32 s1, s1
	s_mov_b32 s3, 0
	s_xor_b32 exec_lo, exec_lo, s1
	s_cbranch_execnz .LBB39_177
.LBB39_134:
	s_or_b32 exec_lo, exec_lo, s1
	s_and_saveexec_b32 s1, s2
	s_cbranch_execnz .LBB39_188
.LBB39_135:
	s_or_b32 exec_lo, exec_lo, s1
	s_and_saveexec_b32 s1, s0
	s_cbranch_execnz .LBB39_189
	s_branch .LBB39_193
.LBB39_136:
	s_mov_b32 s3, 0
	s_mov_b32 s2, exec_lo
	v_cmpx_lt_i64_e32 15, v[0:1]
	s_xor_b32 s2, exec_lo, s2
	s_cbranch_execz .LBB39_158
; %bb.137:
	s_mov_b32 s4, exec_lo
                                        ; implicit-def: $vgpr12
	v_cmpx_lt_i64_e32 18, v[0:1]
	s_xor_b32 s4, exec_lo, s4
	s_cbranch_execz .LBB39_147
; %bb.138:
	s_mov_b32 s5, 0
	s_mov_b32 s3, exec_lo
                                        ; implicit-def: $vgpr12
	v_cmpx_lt_i64_e32 19, v[0:1]
	s_xor_b32 s3, exec_lo, s3
	s_cbranch_execz .LBB39_144
; %bb.139:
	s_mov_b32 s5, exec_lo
	v_cmpx_lt_i64_e32 20, v[0:1]
	s_xor_b32 s5, exec_lo, s5
	s_cbranch_execz .LBB39_141
; %bb.140:
	v_mov_b32_e32 v2, 0
                                        ; implicit-def: $vgpr21
	global_store_b16 v2, v27, s[6:7]
.LBB39_141:
	s_or_saveexec_b32 s5, s5
	s_mov_b32 s8, 0
	s_xor_b32 exec_lo, exec_lo, s5
; %bb.142:
	s_delay_alu instid0(SALU_CYCLE_1)
	s_mov_b32 s8, exec_lo
; %bb.143:
	s_or_b32 exec_lo, exec_lo, s5
	v_mov_b32_e32 v12, v21
	s_and_b32 s5, s8, exec_lo
                                        ; implicit-def: $vgpr26
.LBB39_144:
	s_and_not1_saveexec_b32 s3, s3
	s_cbranch_execz .LBB39_146
; %bb.145:
	v_mov_b32_e32 v2, 0
                                        ; implicit-def: $vgpr12
	global_store_b16 v2, v26, s[6:7]
.LBB39_146:
	s_or_b32 exec_lo, exec_lo, s3
	s_delay_alu instid0(SALU_CYCLE_1)
	s_and_b32 s3, s5, exec_lo
                                        ; implicit-def: $vgpr23
                                        ; implicit-def: $vgpr20
                                        ; implicit-def: $vgpr25
.LBB39_147:
	s_and_not1_saveexec_b32 s4, s4
	s_cbranch_execz .LBB39_157
; %bb.148:
	s_mov_b32 s5, exec_lo
	v_cmpx_lt_i64_e32 16, v[0:1]
	s_xor_b32 s5, exec_lo, s5
	s_cbranch_execz .LBB39_154
; %bb.149:
	s_mov_b32 s8, exec_lo
	v_cmpx_lt_i64_e32 17, v[0:1]
	s_xor_b32 s8, exec_lo, s8
	s_cbranch_execz .LBB39_151
; %bb.150:
	v_mov_b32_e32 v2, 0
                                        ; implicit-def: $vgpr20
	global_store_b16 v2, v25, s[6:7]
.LBB39_151:
	s_and_not1_saveexec_b32 s8, s8
	s_cbranch_execz .LBB39_153
; %bb.152:
	v_mov_b32_e32 v2, 0
	global_store_b16 v2, v20, s[6:7]
.LBB39_153:
	s_or_b32 exec_lo, exec_lo, s8
                                        ; implicit-def: $vgpr23
.LBB39_154:
	s_and_not1_saveexec_b32 s5, s5
	s_cbranch_execz .LBB39_156
; %bb.155:
	v_mov_b32_e32 v2, 0
	global_store_b16 v2, v23, s[6:7]
.LBB39_156:
	s_or_b32 exec_lo, exec_lo, s5
                                        ; implicit-def: $vgpr12
.LBB39_157:
	s_delay_alu instid0(SALU_CYCLE_1) | instskip(NEXT) | instid1(SALU_CYCLE_1)
	s_or_b32 exec_lo, exec_lo, s4
	s_and_b32 s3, s3, exec_lo
                                        ; implicit-def: $vgpr22
                                        ; implicit-def: $vgpr19
                                        ; implicit-def: $vgpr18
                                        ; implicit-def: $vgpr24
.LBB39_158:
	s_and_not1_saveexec_b32 s2, s2
	s_cbranch_execz .LBB39_176
; %bb.159:
	s_mov_b32 s4, exec_lo
	v_cmpx_lt_i64_e32 12, v[0:1]
	s_xor_b32 s4, exec_lo, s4
	s_cbranch_execz .LBB39_169
; %bb.160:
	s_mov_b32 s5, exec_lo
	v_cmpx_lt_i64_e32 13, v[0:1]
	s_xor_b32 s5, exec_lo, s5
	s_cbranch_execz .LBB39_166
; %bb.161:
	s_mov_b32 s8, exec_lo
	v_cmpx_lt_i64_e32 14, v[0:1]
	s_xor_b32 s8, exec_lo, s8
	s_cbranch_execz .LBB39_163
; %bb.162:
	v_mov_b32_e32 v2, 0
                                        ; implicit-def: $vgpr18
	global_store_b16 v2, v24, s[6:7]
.LBB39_163:
	s_and_not1_saveexec_b32 s8, s8
	s_cbranch_execz .LBB39_165
; %bb.164:
	v_mov_b32_e32 v2, 0
	global_store_b16 v2, v18, s[6:7]
.LBB39_165:
	s_or_b32 exec_lo, exec_lo, s8
                                        ; implicit-def: $vgpr22
.LBB39_166:
	s_and_not1_saveexec_b32 s5, s5
	s_cbranch_execz .LBB39_168
; %bb.167:
	v_mov_b32_e32 v2, 0
	global_store_b16 v2, v22, s[6:7]
.LBB39_168:
	s_or_b32 exec_lo, exec_lo, s5
                                        ; implicit-def: $vgpr12
                                        ; implicit-def: $vgpr19
.LBB39_169:
	s_or_saveexec_b32 s4, s4
	s_mov_b32 s5, s3
	s_xor_b32 exec_lo, exec_lo, s4
	s_cbranch_execz .LBB39_175
; %bb.170:
	s_mov_b32 s5, exec_lo
	v_cmpx_lt_i64_e32 11, v[0:1]
	s_xor_b32 s5, exec_lo, s5
	s_cbranch_execz .LBB39_172
; %bb.171:
	v_mov_b32_e32 v2, 0
                                        ; implicit-def: $vgpr12
	global_store_b16 v2, v19, s[6:7]
.LBB39_172:
	s_or_saveexec_b32 s5, s5
	s_mov_b32 s8, s3
	s_xor_b32 exec_lo, exec_lo, s5
; %bb.173:
	s_delay_alu instid0(SALU_CYCLE_1)
	s_or_b32 s8, s3, exec_lo
; %bb.174:
	s_or_b32 exec_lo, exec_lo, s5
	s_delay_alu instid0(SALU_CYCLE_1) | instskip(SKIP_1) | instid1(SALU_CYCLE_1)
	s_and_not1_b32 s5, s3, exec_lo
	s_and_b32 s8, s8, exec_lo
	s_or_b32 s5, s5, s8
.LBB39_175:
	s_or_b32 exec_lo, exec_lo, s4
	s_delay_alu instid0(SALU_CYCLE_1) | instskip(SKIP_1) | instid1(SALU_CYCLE_1)
	s_and_not1_b32 s3, s3, exec_lo
	s_and_b32 s4, s5, exec_lo
	s_or_b32 s3, s3, s4
.LBB39_176:
	s_or_b32 exec_lo, exec_lo, s2
	s_delay_alu instid0(SALU_CYCLE_1)
	s_and_b32 s2, s3, exec_lo
                                        ; implicit-def: $vgpr14
                                        ; implicit-def: $vgpr17
                                        ; implicit-def: $vgpr13
	s_or_saveexec_b32 s1, s1
	s_mov_b32 s3, 0
	s_xor_b32 exec_lo, exec_lo, s1
	s_cbranch_execz .LBB39_134
.LBB39_177:
	s_mov_b32 s4, 0
	s_mov_b32 s3, -1
	s_mov_b32 s5, s2
	s_mov_b32 s0, exec_lo
                                        ; implicit-def: $vgpr12
	v_cmpx_lt_i64_e32 5, v[0:1]
	s_cbranch_execz .LBB39_187
; %bb.178:
	s_mov_b32 s4, -1
	s_mov_b32 s5, s2
	s_mov_b32 s3, exec_lo
	v_cmpx_lt_i64_e32 7, v[0:1]
	s_cbranch_execz .LBB39_186
; %bb.179:
	s_mov_b32 s4, exec_lo
	v_cmpx_lt_i64_e32 8, v[0:1]
	s_cbranch_execz .LBB39_185
; %bb.180:
	s_mov_b32 s5, exec_lo
	v_cmpx_lt_i64_e32 9, v[0:1]
	s_xor_b32 s5, exec_lo, s5
; %bb.181:
                                        ; implicit-def: $vgpr17
; %bb.182:
	s_delay_alu instid0(SALU_CYCLE_1)
	s_and_not1_saveexec_b32 s5, s5
; %bb.183:
	v_mov_b32_e32 v13, v17
; %bb.184:
	s_or_b32 exec_lo, exec_lo, s5
	s_delay_alu instid0(VALU_DEP_1)
	v_mov_b32_e32 v14, v13
.LBB39_185:
	s_or_b32 exec_lo, exec_lo, s4
	s_delay_alu instid0(SALU_CYCLE_1)
	s_xor_b32 s4, exec_lo, -1
	s_or_b32 s5, s2, exec_lo
.LBB39_186:
	s_or_b32 exec_lo, exec_lo, s3
	v_mov_b32_e32 v12, v14
	s_and_not1_b32 s8, s2, exec_lo
	s_and_b32 s5, s5, exec_lo
	s_xor_b32 s3, exec_lo, -1
	s_and_b32 s4, s4, exec_lo
	s_or_b32 s5, s8, s5
.LBB39_187:
	s_or_b32 exec_lo, exec_lo, s0
	s_delay_alu instid0(SALU_CYCLE_1)
	s_and_not1_b32 s2, s2, exec_lo
	s_and_b32 s5, s5, exec_lo
	s_and_b32 s3, s3, exec_lo
	;; [unrolled: 1-line block ×3, first 2 shown]
	s_or_b32 s2, s2, s5
	s_or_b32 exec_lo, exec_lo, s1
	s_and_saveexec_b32 s1, s2
	s_cbranch_execz .LBB39_135
.LBB39_188:
	v_mov_b32_e32 v2, 0
	global_store_b16 v2, v12, s[6:7]
	s_or_b32 exec_lo, exec_lo, s1
	s_and_saveexec_b32 s1, s0
	s_cbranch_execz .LBB39_193
.LBB39_189:
	s_mov_b32 s0, exec_lo
	v_cmpx_lt_i64_e32 6, v[0:1]
	s_xor_b32 s0, exec_lo, s0
	s_cbranch_execz .LBB39_191
; %bb.190:
	v_mov_b32_e32 v2, 0
                                        ; implicit-def: $vgpr10
	global_store_b16 v2, v11, s[6:7]
.LBB39_191:
	s_and_not1_saveexec_b32 s0, s0
	s_cbranch_execz .LBB39_193
; %bb.192:
	v_mov_b32_e32 v2, 0
	global_store_b16 v2, v10, s[6:7]
.LBB39_193:
	s_or_b32 exec_lo, exec_lo, s1
	s_delay_alu instid0(SALU_CYCLE_1)
	s_and_b32 exec_lo, exec_lo, s3
	s_cbranch_execz .LBB39_212
; %bb.194:
	s_mov_b32 s0, exec_lo
	v_cmpx_lt_i64_e32 2, v[0:1]
	s_xor_b32 s0, exec_lo, s0
	s_cbranch_execz .LBB39_204
; %bb.195:
	s_mov_b32 s1, exec_lo
	v_cmpx_lt_i64_e32 3, v[0:1]
	s_xor_b32 s1, exec_lo, s1
	;; [unrolled: 5-line block ×3, first 2 shown]
	s_cbranch_execz .LBB39_198
; %bb.197:
	v_mov_b32_e32 v0, 0
                                        ; implicit-def: $vgpr6
	global_store_b16 v0, v9, s[6:7]
.LBB39_198:
	s_and_not1_saveexec_b32 s2, s2
	s_cbranch_execz .LBB39_200
; %bb.199:
	v_mov_b32_e32 v0, 0
	global_store_b16 v0, v6, s[6:7]
.LBB39_200:
	s_or_b32 exec_lo, exec_lo, s2
                                        ; implicit-def: $vgpr8
.LBB39_201:
	s_and_not1_saveexec_b32 s1, s1
	s_cbranch_execz .LBB39_203
; %bb.202:
	v_mov_b32_e32 v0, 0
	global_store_b16 v0, v8, s[6:7]
.LBB39_203:
	s_or_b32 exec_lo, exec_lo, s1
                                        ; implicit-def: $vgpr0_vgpr1
                                        ; implicit-def: $vgpr7
                                        ; implicit-def: $vgpr4
                                        ; implicit-def: $vgpr5
.LBB39_204:
	s_and_not1_saveexec_b32 s0, s0
	s_cbranch_execz .LBB39_212
; %bb.205:
	s_mov_b32 s0, exec_lo
	v_cmpx_lt_i64_e32 1, v[0:1]
	s_xor_b32 s0, exec_lo, s0
	s_cbranch_execz .LBB39_207
; %bb.206:
	v_mov_b32_e32 v0, 0
                                        ; implicit-def: $vgpr4
                                        ; implicit-def: $vgpr5
	global_store_b16 v0, v7, s[6:7]
                                        ; implicit-def: $vgpr0_vgpr1
.LBB39_207:
	s_and_not1_saveexec_b32 s0, s0
	s_cbranch_execz .LBB39_212
; %bb.208:
	s_mov_b32 s0, exec_lo
	v_cmpx_ne_u64_e32 1, v[0:1]
	s_xor_b32 s0, exec_lo, s0
	s_cbranch_execz .LBB39_210
; %bb.209:
	v_mov_b32_e32 v0, 0
                                        ; implicit-def: $vgpr4
	global_store_b16 v0, v5, s[6:7]
.LBB39_210:
	s_and_not1_saveexec_b32 s0, s0
	s_cbranch_execz .LBB39_212
; %bb.211:
	v_mov_b32_e32 v0, 0
	global_store_b16 v0, v4, s[6:7]
.LBB39_212:
	s_nop 0
	s_sendmsg sendmsg(MSG_DEALLOC_VGPRS)
	s_endpgm
	.section	.rodata,"a",@progbits
	.p2align	6, 0x0
	.amdhsa_kernel _ZN7rocprim17ROCPRIM_304000_NS6detail20lookback_scan_kernelILNS1_25lookback_scan_determinismE0ELb0ENS1_19wrapped_scan_configINS0_14default_configEsEEPKsPsSt10multipliesIsEssNS1_19lookback_scan_stateIsLb0ELb1EEEEEvT2_T3_mT5_T4_T7_jPT6_SK_bb
		.amdhsa_group_segment_fixed_size 2816
		.amdhsa_private_segment_fixed_size 0
		.amdhsa_kernarg_size 68
		.amdhsa_user_sgpr_count 15
		.amdhsa_user_sgpr_dispatch_ptr 0
		.amdhsa_user_sgpr_queue_ptr 0
		.amdhsa_user_sgpr_kernarg_segment_ptr 1
		.amdhsa_user_sgpr_dispatch_id 0
		.amdhsa_user_sgpr_private_segment_size 0
		.amdhsa_wavefront_size32 1
		.amdhsa_uses_dynamic_stack 0
		.amdhsa_enable_private_segment 0
		.amdhsa_system_sgpr_workgroup_id_x 1
		.amdhsa_system_sgpr_workgroup_id_y 0
		.amdhsa_system_sgpr_workgroup_id_z 0
		.amdhsa_system_sgpr_workgroup_info 0
		.amdhsa_system_vgpr_workitem_id 0
		.amdhsa_next_free_vgpr 50
		.amdhsa_next_free_sgpr 19
		.amdhsa_reserve_vcc 1
		.amdhsa_float_round_mode_32 0
		.amdhsa_float_round_mode_16_64 0
		.amdhsa_float_denorm_mode_32 3
		.amdhsa_float_denorm_mode_16_64 3
		.amdhsa_dx10_clamp 1
		.amdhsa_ieee_mode 1
		.amdhsa_fp16_overflow 0
		.amdhsa_workgroup_processor_mode 1
		.amdhsa_memory_ordered 1
		.amdhsa_forward_progress 0
		.amdhsa_shared_vgpr_count 0
		.amdhsa_exception_fp_ieee_invalid_op 0
		.amdhsa_exception_fp_denorm_src 0
		.amdhsa_exception_fp_ieee_div_zero 0
		.amdhsa_exception_fp_ieee_overflow 0
		.amdhsa_exception_fp_ieee_underflow 0
		.amdhsa_exception_fp_ieee_inexact 0
		.amdhsa_exception_int_div_zero 0
	.end_amdhsa_kernel
	.section	.text._ZN7rocprim17ROCPRIM_304000_NS6detail20lookback_scan_kernelILNS1_25lookback_scan_determinismE0ELb0ENS1_19wrapped_scan_configINS0_14default_configEsEEPKsPsSt10multipliesIsEssNS1_19lookback_scan_stateIsLb0ELb1EEEEEvT2_T3_mT5_T4_T7_jPT6_SK_bb,"axG",@progbits,_ZN7rocprim17ROCPRIM_304000_NS6detail20lookback_scan_kernelILNS1_25lookback_scan_determinismE0ELb0ENS1_19wrapped_scan_configINS0_14default_configEsEEPKsPsSt10multipliesIsEssNS1_19lookback_scan_stateIsLb0ELb1EEEEEvT2_T3_mT5_T4_T7_jPT6_SK_bb,comdat
.Lfunc_end39:
	.size	_ZN7rocprim17ROCPRIM_304000_NS6detail20lookback_scan_kernelILNS1_25lookback_scan_determinismE0ELb0ENS1_19wrapped_scan_configINS0_14default_configEsEEPKsPsSt10multipliesIsEssNS1_19lookback_scan_stateIsLb0ELb1EEEEEvT2_T3_mT5_T4_T7_jPT6_SK_bb, .Lfunc_end39-_ZN7rocprim17ROCPRIM_304000_NS6detail20lookback_scan_kernelILNS1_25lookback_scan_determinismE0ELb0ENS1_19wrapped_scan_configINS0_14default_configEsEEPKsPsSt10multipliesIsEssNS1_19lookback_scan_stateIsLb0ELb1EEEEEvT2_T3_mT5_T4_T7_jPT6_SK_bb
                                        ; -- End function
	.section	.AMDGPU.csdata,"",@progbits
; Kernel info:
; codeLenInByte = 8456
; NumSgprs: 21
; NumVgprs: 50
; ScratchSize: 0
; MemoryBound: 0
; FloatMode: 240
; IeeeMode: 1
; LDSByteSize: 2816 bytes/workgroup (compile time only)
; SGPRBlocks: 2
; VGPRBlocks: 6
; NumSGPRsForWavesPerEU: 21
; NumVGPRsForWavesPerEU: 50
; Occupancy: 16
; WaveLimiterHint : 1
; COMPUTE_PGM_RSRC2:SCRATCH_EN: 0
; COMPUTE_PGM_RSRC2:USER_SGPR: 15
; COMPUTE_PGM_RSRC2:TRAP_HANDLER: 0
; COMPUTE_PGM_RSRC2:TGID_X_EN: 1
; COMPUTE_PGM_RSRC2:TGID_Y_EN: 0
; COMPUTE_PGM_RSRC2:TGID_Z_EN: 0
; COMPUTE_PGM_RSRC2:TIDIG_COMP_CNT: 0
	.section	.text._ZN7rocprim17ROCPRIM_304000_NS6detail16transform_kernelINS1_24wrapped_transform_configINS0_14default_configEsEEsPsS6_NS0_8identityIsEEEEvT1_mT2_T3_,"axG",@progbits,_ZN7rocprim17ROCPRIM_304000_NS6detail16transform_kernelINS1_24wrapped_transform_configINS0_14default_configEsEEsPsS6_NS0_8identityIsEEEEvT1_mT2_T3_,comdat
	.protected	_ZN7rocprim17ROCPRIM_304000_NS6detail16transform_kernelINS1_24wrapped_transform_configINS0_14default_configEsEEsPsS6_NS0_8identityIsEEEEvT1_mT2_T3_ ; -- Begin function _ZN7rocprim17ROCPRIM_304000_NS6detail16transform_kernelINS1_24wrapped_transform_configINS0_14default_configEsEEsPsS6_NS0_8identityIsEEEEvT1_mT2_T3_
	.globl	_ZN7rocprim17ROCPRIM_304000_NS6detail16transform_kernelINS1_24wrapped_transform_configINS0_14default_configEsEEsPsS6_NS0_8identityIsEEEEvT1_mT2_T3_
	.p2align	8
	.type	_ZN7rocprim17ROCPRIM_304000_NS6detail16transform_kernelINS1_24wrapped_transform_configINS0_14default_configEsEEsPsS6_NS0_8identityIsEEEEvT1_mT2_T3_,@function
_ZN7rocprim17ROCPRIM_304000_NS6detail16transform_kernelINS1_24wrapped_transform_configINS0_14default_configEsEEsPsS6_NS0_8identityIsEEEEvT1_mT2_T3_: ; @_ZN7rocprim17ROCPRIM_304000_NS6detail16transform_kernelINS1_24wrapped_transform_configINS0_14default_configEsEEsPsS6_NS0_8identityIsEEEEvT1_mT2_T3_
; %bb.0:
	s_clause 0x2
	s_load_b32 s10, s[0:1], 0x20
	s_load_b128 s[4:7], s[0:1], 0x0
	s_load_b64 s[2:3], s[0:1], 0x10
	s_mov_b32 s1, 0
	s_lshl_b32 s0, s15, 11
	v_lshlrev_b32_e32 v3, 1, v0
	s_lshl_b64 s[8:9], s[0:1], 1
	s_waitcnt lgkmcnt(0)
	s_add_i32 s10, s10, -1
	s_add_u32 s4, s4, s8
	s_addc_u32 s5, s5, s9
	v_add_co_u32 v1, s4, s4, v3
	s_delay_alu instid0(VALU_DEP_1)
	v_add_co_ci_u32_e64 v2, null, s5, 0, s4
	s_cmp_lg_u32 s15, s10
	s_mov_b32 s4, -1
	s_cbranch_scc0 .LBB40_2
; %bb.1:
	s_clause 0x1
	global_load_u16 v5, v[1:2], off
	global_load_u16 v4, v[1:2], off offset:2048
	s_add_u32 s10, s2, s8
	s_addc_u32 s11, s3, s9
	s_mov_b32 s1, -1
	s_waitcnt vmcnt(1)
	global_store_b16 v3, v5, s[10:11]
	s_cbranch_execz .LBB40_3
	s_branch .LBB40_10
.LBB40_2:
                                        ; implicit-def: $vgpr4
	s_and_not1_b32 vcc_lo, exec_lo, s4
	s_cbranch_vccnz .LBB40_10
.LBB40_3:
	s_sub_i32 s0, s6, s0
                                        ; implicit-def: $vgpr5
	s_delay_alu instid0(SALU_CYCLE_1)
	v_cmp_gt_u32_e32 vcc_lo, s0, v0
	s_and_saveexec_b32 s4, vcc_lo
	s_cbranch_execz .LBB40_5
; %bb.4:
	global_load_d16_b16 v5, v[1:2], off
.LBB40_5:
	s_or_b32 exec_lo, exec_lo, s4
	v_or_b32_e32 v0, 0x400, v0
	s_delay_alu instid0(VALU_DEP_1) | instskip(NEXT) | instid1(VALU_DEP_1)
	v_cmp_gt_u32_e64 s0, s0, v0
	s_and_saveexec_b32 s4, s0
	s_cbranch_execnz .LBB40_13
; %bb.6:
	s_or_b32 exec_lo, exec_lo, s4
	s_and_saveexec_b32 s4, vcc_lo
	s_cbranch_execnz .LBB40_14
.LBB40_7:
	s_or_b32 exec_lo, exec_lo, s4
                                        ; implicit-def: $vgpr4
	s_and_saveexec_b32 s4, s0
	s_cbranch_execz .LBB40_9
.LBB40_8:
	s_waitcnt vmcnt(0)
	v_lshrrev_b32_e32 v4, 16, v5
	s_or_b32 s1, s1, exec_lo
.LBB40_9:
	s_or_b32 exec_lo, exec_lo, s4
.LBB40_10:
	s_and_saveexec_b32 s0, s1
	s_cbranch_execnz .LBB40_12
; %bb.11:
	s_nop 0
	s_sendmsg sendmsg(MSG_DEALLOC_VGPRS)
	s_endpgm
.LBB40_12:
	s_add_u32 s0, s2, s8
	s_addc_u32 s1, s3, s9
	s_waitcnt vmcnt(0)
	global_store_b16 v3, v4, s[0:1] offset:2048
	s_nop 0
	s_sendmsg sendmsg(MSG_DEALLOC_VGPRS)
	s_endpgm
.LBB40_13:
	global_load_d16_hi_b16 v5, v[1:2], off offset:2048
	s_or_b32 exec_lo, exec_lo, s4
	s_and_saveexec_b32 s4, vcc_lo
	s_cbranch_execz .LBB40_7
.LBB40_14:
	s_add_u32 s6, s2, s8
	s_addc_u32 s7, s3, s9
	s_waitcnt vmcnt(0)
	global_store_b16 v3, v5, s[6:7]
	s_or_b32 exec_lo, exec_lo, s4
                                        ; implicit-def: $vgpr4
	s_and_saveexec_b32 s4, s0
	s_cbranch_execnz .LBB40_8
	s_branch .LBB40_9
	.section	.rodata,"a",@progbits
	.p2align	6, 0x0
	.amdhsa_kernel _ZN7rocprim17ROCPRIM_304000_NS6detail16transform_kernelINS1_24wrapped_transform_configINS0_14default_configEsEEsPsS6_NS0_8identityIsEEEEvT1_mT2_T3_
		.amdhsa_group_segment_fixed_size 0
		.amdhsa_private_segment_fixed_size 0
		.amdhsa_kernarg_size 288
		.amdhsa_user_sgpr_count 15
		.amdhsa_user_sgpr_dispatch_ptr 0
		.amdhsa_user_sgpr_queue_ptr 0
		.amdhsa_user_sgpr_kernarg_segment_ptr 1
		.amdhsa_user_sgpr_dispatch_id 0
		.amdhsa_user_sgpr_private_segment_size 0
		.amdhsa_wavefront_size32 1
		.amdhsa_uses_dynamic_stack 0
		.amdhsa_enable_private_segment 0
		.amdhsa_system_sgpr_workgroup_id_x 1
		.amdhsa_system_sgpr_workgroup_id_y 0
		.amdhsa_system_sgpr_workgroup_id_z 0
		.amdhsa_system_sgpr_workgroup_info 0
		.amdhsa_system_vgpr_workitem_id 0
		.amdhsa_next_free_vgpr 6
		.amdhsa_next_free_sgpr 16
		.amdhsa_reserve_vcc 1
		.amdhsa_float_round_mode_32 0
		.amdhsa_float_round_mode_16_64 0
		.amdhsa_float_denorm_mode_32 3
		.amdhsa_float_denorm_mode_16_64 3
		.amdhsa_dx10_clamp 1
		.amdhsa_ieee_mode 1
		.amdhsa_fp16_overflow 0
		.amdhsa_workgroup_processor_mode 1
		.amdhsa_memory_ordered 1
		.amdhsa_forward_progress 0
		.amdhsa_shared_vgpr_count 0
		.amdhsa_exception_fp_ieee_invalid_op 0
		.amdhsa_exception_fp_denorm_src 0
		.amdhsa_exception_fp_ieee_div_zero 0
		.amdhsa_exception_fp_ieee_overflow 0
		.amdhsa_exception_fp_ieee_underflow 0
		.amdhsa_exception_fp_ieee_inexact 0
		.amdhsa_exception_int_div_zero 0
	.end_amdhsa_kernel
	.section	.text._ZN7rocprim17ROCPRIM_304000_NS6detail16transform_kernelINS1_24wrapped_transform_configINS0_14default_configEsEEsPsS6_NS0_8identityIsEEEEvT1_mT2_T3_,"axG",@progbits,_ZN7rocprim17ROCPRIM_304000_NS6detail16transform_kernelINS1_24wrapped_transform_configINS0_14default_configEsEEsPsS6_NS0_8identityIsEEEEvT1_mT2_T3_,comdat
.Lfunc_end40:
	.size	_ZN7rocprim17ROCPRIM_304000_NS6detail16transform_kernelINS1_24wrapped_transform_configINS0_14default_configEsEEsPsS6_NS0_8identityIsEEEEvT1_mT2_T3_, .Lfunc_end40-_ZN7rocprim17ROCPRIM_304000_NS6detail16transform_kernelINS1_24wrapped_transform_configINS0_14default_configEsEEsPsS6_NS0_8identityIsEEEEvT1_mT2_T3_
                                        ; -- End function
	.section	.AMDGPU.csdata,"",@progbits
; Kernel info:
; codeLenInByte = 360
; NumSgprs: 18
; NumVgprs: 6
; ScratchSize: 0
; MemoryBound: 0
; FloatMode: 240
; IeeeMode: 1
; LDSByteSize: 0 bytes/workgroup (compile time only)
; SGPRBlocks: 2
; VGPRBlocks: 0
; NumSGPRsForWavesPerEU: 18
; NumVGPRsForWavesPerEU: 6
; Occupancy: 16
; WaveLimiterHint : 1
; COMPUTE_PGM_RSRC2:SCRATCH_EN: 0
; COMPUTE_PGM_RSRC2:USER_SGPR: 15
; COMPUTE_PGM_RSRC2:TRAP_HANDLER: 0
; COMPUTE_PGM_RSRC2:TGID_X_EN: 1
; COMPUTE_PGM_RSRC2:TGID_Y_EN: 0
; COMPUTE_PGM_RSRC2:TGID_Z_EN: 0
; COMPUTE_PGM_RSRC2:TIDIG_COMP_CNT: 0
	.section	.text._ZN7rocprim17ROCPRIM_304000_NS6detail18single_scan_kernelILb0ENS1_19wrapped_scan_configINS0_14default_configEsEEPKsPsSt10multipliesIsEssEEvT1_mT4_T2_T3_,"axG",@progbits,_ZN7rocprim17ROCPRIM_304000_NS6detail18single_scan_kernelILb0ENS1_19wrapped_scan_configINS0_14default_configEsEEPKsPsSt10multipliesIsEssEEvT1_mT4_T2_T3_,comdat
	.protected	_ZN7rocprim17ROCPRIM_304000_NS6detail18single_scan_kernelILb0ENS1_19wrapped_scan_configINS0_14default_configEsEEPKsPsSt10multipliesIsEssEEvT1_mT4_T2_T3_ ; -- Begin function _ZN7rocprim17ROCPRIM_304000_NS6detail18single_scan_kernelILb0ENS1_19wrapped_scan_configINS0_14default_configEsEEPKsPsSt10multipliesIsEssEEvT1_mT4_T2_T3_
	.globl	_ZN7rocprim17ROCPRIM_304000_NS6detail18single_scan_kernelILb0ENS1_19wrapped_scan_configINS0_14default_configEsEEPKsPsSt10multipliesIsEssEEvT1_mT4_T2_T3_
	.p2align	8
	.type	_ZN7rocprim17ROCPRIM_304000_NS6detail18single_scan_kernelILb0ENS1_19wrapped_scan_configINS0_14default_configEsEEPKsPsSt10multipliesIsEssEEvT1_mT4_T2_T3_,@function
_ZN7rocprim17ROCPRIM_304000_NS6detail18single_scan_kernelILb0ENS1_19wrapped_scan_configINS0_14default_configEsEEPKsPsSt10multipliesIsEssEEvT1_mT4_T2_T3_: ; @_ZN7rocprim17ROCPRIM_304000_NS6detail18single_scan_kernelILb0ENS1_19wrapped_scan_configINS0_14default_configEsEEPKsPsSt10multipliesIsEssEEvT1_mT4_T2_T3_
; %bb.0:
	s_load_b128 s[20:23], s[0:1], 0x0
	v_mov_b32_e32 v1, 0
	v_lshlrev_b32_e32 v11, 1, v0
	s_waitcnt lgkmcnt(0)
	global_load_u16 v3, v1, s[20:21]
	v_add_co_u32 v1, s2, s20, v11
	s_delay_alu instid0(VALU_DEP_1)
	v_add_co_ci_u32_e64 v2, null, s21, 0, s2
	v_cmp_gt_u32_e32 vcc_lo, s22, v0
	s_waitcnt vmcnt(0)
	v_mov_b32_e32 v4, v3
	s_and_saveexec_b32 s2, vcc_lo
	s_cbranch_execz .LBB41_2
; %bb.1:
	global_load_u16 v4, v[1:2], off
.LBB41_2:
	s_or_b32 exec_lo, exec_lo, s2
	v_or_b32_e32 v5, 64, v0
	s_delay_alu instid0(VALU_DEP_1) | instskip(SKIP_1) | instid1(VALU_DEP_2)
	v_cmp_gt_u32_e64 s2, s22, v5
	v_mov_b32_e32 v5, v3
	s_and_saveexec_b32 s3, s2
	s_cbranch_execz .LBB41_4
; %bb.3:
	global_load_u16 v5, v[1:2], off offset:128
.LBB41_4:
	s_or_b32 exec_lo, exec_lo, s3
	v_or_b32_e32 v6, 0x80, v0
	s_delay_alu instid0(VALU_DEP_1) | instskip(SKIP_1) | instid1(VALU_DEP_2)
	v_cmp_gt_u32_e64 s3, s22, v6
	v_mov_b32_e32 v6, v3
	s_and_saveexec_b32 s4, s3
	s_cbranch_execz .LBB41_6
; %bb.5:
	global_load_u16 v6, v[1:2], off offset:256
.LBB41_6:
	;; [unrolled: 10-line block ×20, first 2 shown]
	s_or_b32 exec_lo, exec_lo, s23
	v_or_b32_e32 v26, 0x540, v0
	s_delay_alu instid0(VALU_DEP_1) | instskip(NEXT) | instid1(VALU_DEP_1)
	v_cmp_gt_u32_e64 s22, s22, v26
	s_and_saveexec_b32 s23, s22
	s_cbranch_execz .LBB41_44
; %bb.43:
	global_load_u16 v3, v[1:2], off offset:2688
.LBB41_44:
	s_or_b32 exec_lo, exec_lo, s23
	s_waitcnt vmcnt(0)
	ds_store_b16 v11, v4
	ds_store_b16 v11, v5 offset:128
	ds_store_b16 v11, v6 offset:256
	;; [unrolled: 1-line block ×15, first 2 shown]
	v_mad_u32_u24 v13, v0, 42, v11
	ds_store_b16 v11, v21 offset:2048
	ds_store_b16 v11, v22 offset:2176
	ds_store_b16 v11, v23 offset:2304
	ds_store_b16 v11, v24 offset:2432
	ds_store_b16 v11, v25 offset:2560
	ds_store_b16 v11, v3 offset:2688
	s_waitcnt lgkmcnt(0)
	s_barrier
	buffer_gl0_inv
	ds_load_2addr_b32 v[7:8], v13 offset1:1
	ds_load_2addr_b32 v[5:6], v13 offset0:2 offset1:3
	ds_load_2addr_b32 v[3:4], v13 offset0:4 offset1:5
	;; [unrolled: 1-line block ×3, first 2 shown]
	v_lshrrev_b32_e32 v24, 4, v0
	s_mov_b32 s24, exec_lo
	s_delay_alu instid0(VALU_DEP_1) | instskip(NEXT) | instid1(VALU_DEP_1)
	v_and_b32_e32 v24, 2, v24
	v_add_nc_u32_e32 v26, v11, v24
	s_waitcnt lgkmcnt(3)
	v_lshrrev_b32_e32 v12, 16, v7
	v_lshrrev_b32_e32 v14, 16, v8
	s_waitcnt lgkmcnt(2)
	v_lshrrev_b32_e32 v16, 16, v5
	v_lshrrev_b32_e32 v17, 16, v6
	s_waitcnt lgkmcnt(1)
	v_lshrrev_b32_e32 v18, 16, v3
	v_mul_lo_u16 v9, v12, v7
	v_lshrrev_b32_e32 v19, 16, v4
	s_waitcnt lgkmcnt(0)
	v_lshrrev_b32_e32 v21, 16, v1
	v_lshrrev_b32_e32 v22, 16, v2
	v_mul_lo_u16 v9, v9, v8
	s_delay_alu instid0(VALU_DEP_1) | instskip(NEXT) | instid1(VALU_DEP_1)
	v_mul_lo_u16 v9, v9, v14
	v_mul_lo_u16 v9, v9, v5
	s_delay_alu instid0(VALU_DEP_1) | instskip(NEXT) | instid1(VALU_DEP_1)
	v_mul_lo_u16 v9, v9, v16
	;; [unrolled: 3-line block ×4, first 2 shown]
	v_mul_lo_u16 v9, v9, v4
	s_delay_alu instid0(VALU_DEP_1)
	v_mul_lo_u16 v15, v9, v19
	ds_load_2addr_b32 v[9:10], v13 offset0:8 offset1:9
	ds_load_b32 v13, v13 offset:40
	s_waitcnt lgkmcnt(0)
	s_barrier
	v_mul_lo_u16 v15, v15, v1
	buffer_gl0_inv
	v_mul_lo_u16 v15, v15, v21
	s_delay_alu instid0(VALU_DEP_1) | instskip(NEXT) | instid1(VALU_DEP_1)
	v_mul_lo_u16 v15, v15, v2
	v_mul_lo_u16 v15, v15, v22
	v_lshrrev_b32_e32 v23, 16, v9
	v_lshrrev_b32_e32 v20, 16, v10
	s_delay_alu instid0(VALU_DEP_3) | instskip(NEXT) | instid1(VALU_DEP_1)
	v_mul_lo_u16 v15, v15, v9
	v_mul_lo_u16 v15, v15, v23
	s_delay_alu instid0(VALU_DEP_1) | instskip(NEXT) | instid1(VALU_DEP_1)
	v_mul_lo_u16 v15, v15, v10
	v_mul_lo_u16 v25, v15, v20
	v_lshrrev_b32_e32 v15, 16, v13
	s_delay_alu instid0(VALU_DEP_2) | instskip(NEXT) | instid1(VALU_DEP_1)
	v_mul_lo_u16 v25, v25, v13
	v_mul_lo_u16 v24, v25, v15
	ds_store_b16 v26, v24
	s_waitcnt lgkmcnt(0)
	s_barrier
	buffer_gl0_inv
	v_cmpx_gt_u32_e32 32, v0
	s_cbranch_execz .LBB41_46
; %bb.45:
	v_lshrrev_b32_e32 v25, 3, v0
	v_mbcnt_lo_u32_b32 v31, -1, 0
	s_delay_alu instid0(VALU_DEP_2) | instskip(NEXT) | instid1(VALU_DEP_2)
	v_and_b32_e32 v25, 6, v25
	v_and_b32_e32 v32, 15, v31
	s_delay_alu instid0(VALU_DEP_2) | instskip(NEXT) | instid1(VALU_DEP_2)
	v_lshl_or_b32 v25, v0, 2, v25
	v_cmp_eq_u32_e64 s23, 0, v32
	ds_load_u16 v26, v25
	ds_load_u16 v27, v25 offset:2
	s_waitcnt lgkmcnt(0)
	v_mul_lo_u16 v28, v27, v26
	s_delay_alu instid0(VALU_DEP_1) | instskip(NEXT) | instid1(VALU_DEP_1)
	v_and_b32_e32 v29, 0xffff, v28
	v_mov_b32_dpp v30, v29 row_shr:1 row_mask:0xf bank_mask:0xf
	s_delay_alu instid0(VALU_DEP_1) | instskip(NEXT) | instid1(VALU_DEP_1)
	v_mul_lo_u16 v30, v28, v30
	v_and_b32_e32 v33, 0xffff, v30
	v_cndmask_b32_e64 v28, v30, v28, s23
	s_delay_alu instid0(VALU_DEP_2) | instskip(SKIP_1) | instid1(VALU_DEP_2)
	v_cndmask_b32_e64 v29, v33, v29, s23
	v_cmp_lt_u32_e64 s23, 1, v32
	v_mov_b32_dpp v30, v29 row_shr:2 row_mask:0xf bank_mask:0xf
	s_delay_alu instid0(VALU_DEP_1) | instskip(NEXT) | instid1(VALU_DEP_1)
	v_mul_lo_u16 v30, v28, v30
	v_and_b32_e32 v33, 0xffff, v30
	s_delay_alu instid0(VALU_DEP_4) | instskip(NEXT) | instid1(VALU_DEP_2)
	v_cndmask_b32_e64 v28, v28, v30, s23
	v_cndmask_b32_e64 v29, v29, v33, s23
	v_cmp_lt_u32_e64 s23, 3, v32
	s_delay_alu instid0(VALU_DEP_2) | instskip(NEXT) | instid1(VALU_DEP_1)
	v_mov_b32_dpp v30, v29 row_shr:4 row_mask:0xf bank_mask:0xf
	v_mul_lo_u16 v30, v28, v30
	s_delay_alu instid0(VALU_DEP_1) | instskip(NEXT) | instid1(VALU_DEP_4)
	v_and_b32_e32 v33, 0xffff, v30
	v_cndmask_b32_e64 v28, v28, v30, s23
	s_delay_alu instid0(VALU_DEP_2) | instskip(SKIP_2) | instid1(VALU_DEP_3)
	v_cndmask_b32_e64 v29, v29, v33, s23
	v_cmp_lt_u32_e64 s23, 7, v32
	v_and_b32_e32 v32, 16, v31
	v_mov_b32_dpp v30, v29 row_shr:8 row_mask:0xf bank_mask:0xf
	s_delay_alu instid0(VALU_DEP_1) | instskip(NEXT) | instid1(VALU_DEP_1)
	v_mul_lo_u16 v30, v28, v30
	v_and_b32_e32 v33, 0xffff, v30
	v_cndmask_b32_e64 v28, v28, v30, s23
	v_add_nc_u32_e32 v30, -1, v31
	s_delay_alu instid0(VALU_DEP_3)
	v_cndmask_b32_e64 v29, v29, v33, s23
	v_cmp_ne_u32_e64 s23, 0, v32
	ds_swizzle_b32 v29, v29 offset:swizzle(BROADCAST,32,15)
	s_waitcnt lgkmcnt(0)
	v_cndmask_b32_e64 v29, 1, v29, s23
	v_cmp_gt_i32_e64 s23, 0, v30
	s_delay_alu instid0(VALU_DEP_2) | instskip(NEXT) | instid1(VALU_DEP_2)
	v_mul_lo_u16 v28, v28, v29
	v_cndmask_b32_e64 v29, v30, v31, s23
	v_cmp_eq_u32_e64 s23, 0, v0
	s_delay_alu instid0(VALU_DEP_3) | instskip(NEXT) | instid1(VALU_DEP_3)
	v_and_b32_e32 v28, 0xffff, v28
	v_lshlrev_b32_e32 v29, 2, v29
	ds_bpermute_b32 v28, v29, v28
	s_waitcnt lgkmcnt(0)
	v_mul_lo_u16 v26, v26, v28
	s_delay_alu instid0(VALU_DEP_1) | instskip(NEXT) | instid1(VALU_DEP_1)
	v_cndmask_b32_e64 v24, v26, v24, s23
	v_mul_lo_u16 v26, v24, v27
	ds_store_b16 v25, v24
	ds_store_b16 v25, v26 offset:2
.LBB41_46:
	s_or_b32 exec_lo, exec_lo, s24
	v_mul_u32_u24_e32 v24, 42, v0
	v_mov_b32_e32 v25, 1
	s_mov_b32 s24, exec_lo
	s_waitcnt lgkmcnt(0)
	s_barrier
	buffer_gl0_inv
	v_cmpx_ne_u32_e32 0, v0
	s_cbranch_execz .LBB41_48
; %bb.47:
	v_add_nc_u32_e32 v0, -1, v0
	s_delay_alu instid0(VALU_DEP_1) | instskip(NEXT) | instid1(VALU_DEP_1)
	v_lshrrev_b32_e32 v25, 5, v0
	v_add_lshl_u32 v0, v25, v0, 1
	ds_load_u16 v25, v0
.LBB41_48:
	s_or_b32 exec_lo, exec_lo, s24
	s_waitcnt lgkmcnt(0)
	v_mul_lo_u16 v0, v25, v7
	s_barrier
	buffer_gl0_inv
	s_load_b64 s[0:1], s[0:1], 0x18
	v_mul_lo_u16 v7, v0, v12
	s_delay_alu instid0(VALU_DEP_1) | instskip(SKIP_1) | instid1(VALU_DEP_2)
	v_mul_lo_u16 v8, v7, v8
	v_perm_b32 v0, v7, v0, 0x5040100
	v_mul_lo_u16 v12, v8, v14
	s_delay_alu instid0(VALU_DEP_1) | instskip(SKIP_1) | instid1(VALU_DEP_2)
	v_mul_lo_u16 v5, v12, v5
	v_perm_b32 v7, v12, v8, 0x5040100
	;; [unrolled: 4-line block ×8, first 2 shown]
	v_mul_lo_u16 v22, v9, v23
	v_add_nc_u32_e32 v23, v11, v24
	s_delay_alu instid0(VALU_DEP_2) | instskip(SKIP_1) | instid1(VALU_DEP_2)
	v_mul_lo_u16 v10, v22, v10
	v_perm_b32 v9, v22, v9, 0x5040100
	v_mul_lo_u16 v20, v10, v20
	s_delay_alu instid0(VALU_DEP_1) | instskip(SKIP_1) | instid1(VALU_DEP_2)
	v_mul_lo_u16 v8, v20, v13
	v_perm_b32 v10, v20, v10, 0x5040100
	v_mul_lo_u16 v12, v8, v15
	s_delay_alu instid0(VALU_DEP_1)
	v_perm_b32 v8, v12, v8, 0x5040100
	ds_store_2addr_b32 v23, v0, v7 offset1:1
	ds_store_2addr_b32 v23, v5, v6 offset0:2 offset1:3
	ds_store_2addr_b32 v23, v3, v4 offset0:4 offset1:5
	;; [unrolled: 1-line block ×4, first 2 shown]
	ds_store_b32 v23, v8 offset:40
	s_waitcnt lgkmcnt(0)
	s_barrier
	buffer_gl0_inv
	ds_load_u16 v23, v11 offset:128
	ds_load_u16 v22, v11 offset:256
	;; [unrolled: 1-line block ×21, first 2 shown]
	v_add_co_u32 v0, s0, s0, v11
	s_delay_alu instid0(VALU_DEP_1)
	v_add_co_ci_u32_e64 v1, null, s1, 0, s0
	s_and_saveexec_b32 s0, vcc_lo
	s_cbranch_execnz .LBB41_71
; %bb.49:
	s_or_b32 exec_lo, exec_lo, s0
	s_and_saveexec_b32 s0, s2
	s_cbranch_execnz .LBB41_72
.LBB41_50:
	s_or_b32 exec_lo, exec_lo, s0
	s_and_saveexec_b32 s0, s3
	s_cbranch_execnz .LBB41_73
.LBB41_51:
	s_or_b32 exec_lo, exec_lo, s0
	s_and_saveexec_b32 s0, s4
	s_cbranch_execnz .LBB41_74
.LBB41_52:
	s_or_b32 exec_lo, exec_lo, s0
	s_and_saveexec_b32 s0, s5
	s_cbranch_execnz .LBB41_75
.LBB41_53:
	s_or_b32 exec_lo, exec_lo, s0
	s_and_saveexec_b32 s0, s6
	s_cbranch_execnz .LBB41_76
.LBB41_54:
	s_or_b32 exec_lo, exec_lo, s0
	s_and_saveexec_b32 s0, s7
	s_cbranch_execnz .LBB41_77
.LBB41_55:
	s_or_b32 exec_lo, exec_lo, s0
	s_and_saveexec_b32 s0, s8
	s_cbranch_execnz .LBB41_78
.LBB41_56:
	s_or_b32 exec_lo, exec_lo, s0
	s_and_saveexec_b32 s0, s9
	s_cbranch_execnz .LBB41_79
.LBB41_57:
	s_or_b32 exec_lo, exec_lo, s0
	s_and_saveexec_b32 s0, s10
	s_cbranch_execnz .LBB41_80
.LBB41_58:
	s_or_b32 exec_lo, exec_lo, s0
	s_and_saveexec_b32 s0, s11
	s_cbranch_execnz .LBB41_81
.LBB41_59:
	s_or_b32 exec_lo, exec_lo, s0
	s_and_saveexec_b32 s0, s12
	s_cbranch_execnz .LBB41_82
.LBB41_60:
	s_or_b32 exec_lo, exec_lo, s0
	s_and_saveexec_b32 s0, s13
	s_cbranch_execnz .LBB41_83
.LBB41_61:
	s_or_b32 exec_lo, exec_lo, s0
	s_and_saveexec_b32 s0, s14
	s_cbranch_execnz .LBB41_84
.LBB41_62:
	s_or_b32 exec_lo, exec_lo, s0
	s_and_saveexec_b32 s0, s15
	s_cbranch_execnz .LBB41_85
.LBB41_63:
	s_or_b32 exec_lo, exec_lo, s0
	s_and_saveexec_b32 s0, s16
	s_cbranch_execnz .LBB41_86
.LBB41_64:
	s_or_b32 exec_lo, exec_lo, s0
	s_and_saveexec_b32 s0, s17
	s_cbranch_execnz .LBB41_87
.LBB41_65:
	s_or_b32 exec_lo, exec_lo, s0
	s_and_saveexec_b32 s0, s18
	s_cbranch_execnz .LBB41_88
.LBB41_66:
	s_or_b32 exec_lo, exec_lo, s0
	s_and_saveexec_b32 s0, s19
	s_cbranch_execnz .LBB41_89
.LBB41_67:
	s_or_b32 exec_lo, exec_lo, s0
	s_and_saveexec_b32 s0, s20
	s_cbranch_execnz .LBB41_90
.LBB41_68:
	s_or_b32 exec_lo, exec_lo, s0
	s_and_saveexec_b32 s0, s21
	s_cbranch_execnz .LBB41_91
.LBB41_69:
	s_or_b32 exec_lo, exec_lo, s0
	s_and_saveexec_b32 s0, s22
	s_cbranch_execnz .LBB41_92
.LBB41_70:
	s_nop 0
	s_sendmsg sendmsg(MSG_DEALLOC_VGPRS)
	s_endpgm
.LBB41_71:
	ds_load_u16 v11, v11
	s_waitcnt lgkmcnt(0)
	global_store_b16 v[0:1], v11, off
	s_or_b32 exec_lo, exec_lo, s0
	s_and_saveexec_b32 s0, s2
	s_cbranch_execz .LBB41_50
.LBB41_72:
	s_waitcnt lgkmcnt(20)
	global_store_b16 v[0:1], v23, off offset:128
	s_or_b32 exec_lo, exec_lo, s0
	s_and_saveexec_b32 s0, s3
	s_cbranch_execz .LBB41_51
.LBB41_73:
	s_waitcnt lgkmcnt(19)
	global_store_b16 v[0:1], v22, off offset:256
	s_or_b32 exec_lo, exec_lo, s0
	s_and_saveexec_b32 s0, s4
	s_cbranch_execz .LBB41_52
.LBB41_74:
	s_waitcnt lgkmcnt(18)
	global_store_b16 v[0:1], v21, off offset:384
	s_or_b32 exec_lo, exec_lo, s0
	s_and_saveexec_b32 s0, s5
	s_cbranch_execz .LBB41_53
.LBB41_75:
	s_waitcnt lgkmcnt(17)
	global_store_b16 v[0:1], v20, off offset:512
	s_or_b32 exec_lo, exec_lo, s0
	s_and_saveexec_b32 s0, s6
	s_cbranch_execz .LBB41_54
.LBB41_76:
	s_waitcnt lgkmcnt(16)
	global_store_b16 v[0:1], v19, off offset:640
	s_or_b32 exec_lo, exec_lo, s0
	s_and_saveexec_b32 s0, s7
	s_cbranch_execz .LBB41_55
.LBB41_77:
	s_waitcnt lgkmcnt(15)
	global_store_b16 v[0:1], v18, off offset:768
	s_or_b32 exec_lo, exec_lo, s0
	s_and_saveexec_b32 s0, s8
	s_cbranch_execz .LBB41_56
.LBB41_78:
	s_waitcnt lgkmcnt(14)
	global_store_b16 v[0:1], v17, off offset:896
	s_or_b32 exec_lo, exec_lo, s0
	s_and_saveexec_b32 s0, s9
	s_cbranch_execz .LBB41_57
.LBB41_79:
	s_waitcnt lgkmcnt(13)
	global_store_b16 v[0:1], v16, off offset:1024
	s_or_b32 exec_lo, exec_lo, s0
	s_and_saveexec_b32 s0, s10
	s_cbranch_execz .LBB41_58
.LBB41_80:
	s_waitcnt lgkmcnt(12)
	global_store_b16 v[0:1], v15, off offset:1152
	s_or_b32 exec_lo, exec_lo, s0
	s_and_saveexec_b32 s0, s11
	s_cbranch_execz .LBB41_59
.LBB41_81:
	s_waitcnt lgkmcnt(11)
	global_store_b16 v[0:1], v14, off offset:1280
	s_or_b32 exec_lo, exec_lo, s0
	s_and_saveexec_b32 s0, s12
	s_cbranch_execz .LBB41_60
.LBB41_82:
	s_waitcnt lgkmcnt(10)
	global_store_b16 v[0:1], v13, off offset:1408
	s_or_b32 exec_lo, exec_lo, s0
	s_and_saveexec_b32 s0, s13
	s_cbranch_execz .LBB41_61
.LBB41_83:
	s_waitcnt lgkmcnt(9)
	global_store_b16 v[0:1], v12, off offset:1536
	s_or_b32 exec_lo, exec_lo, s0
	s_and_saveexec_b32 s0, s14
	s_cbranch_execz .LBB41_62
.LBB41_84:
	s_waitcnt lgkmcnt(8)
	global_store_b16 v[0:1], v10, off offset:1664
	s_or_b32 exec_lo, exec_lo, s0
	s_and_saveexec_b32 s0, s15
	s_cbranch_execz .LBB41_63
.LBB41_85:
	s_waitcnt lgkmcnt(7)
	global_store_b16 v[0:1], v9, off offset:1792
	s_or_b32 exec_lo, exec_lo, s0
	s_and_saveexec_b32 s0, s16
	s_cbranch_execz .LBB41_64
.LBB41_86:
	s_waitcnt lgkmcnt(6)
	global_store_b16 v[0:1], v8, off offset:1920
	s_or_b32 exec_lo, exec_lo, s0
	s_and_saveexec_b32 s0, s17
	s_cbranch_execz .LBB41_65
.LBB41_87:
	s_waitcnt lgkmcnt(5)
	global_store_b16 v[0:1], v7, off offset:2048
	s_or_b32 exec_lo, exec_lo, s0
	s_and_saveexec_b32 s0, s18
	s_cbranch_execz .LBB41_66
.LBB41_88:
	s_waitcnt lgkmcnt(4)
	global_store_b16 v[0:1], v6, off offset:2176
	s_or_b32 exec_lo, exec_lo, s0
	s_and_saveexec_b32 s0, s19
	s_cbranch_execz .LBB41_67
.LBB41_89:
	s_waitcnt lgkmcnt(3)
	global_store_b16 v[0:1], v5, off offset:2304
	s_or_b32 exec_lo, exec_lo, s0
	s_and_saveexec_b32 s0, s20
	s_cbranch_execz .LBB41_68
.LBB41_90:
	s_waitcnt lgkmcnt(2)
	global_store_b16 v[0:1], v4, off offset:2432
	s_or_b32 exec_lo, exec_lo, s0
	s_and_saveexec_b32 s0, s21
	s_cbranch_execz .LBB41_69
.LBB41_91:
	s_waitcnt lgkmcnt(1)
	global_store_b16 v[0:1], v3, off offset:2560
	s_or_b32 exec_lo, exec_lo, s0
	s_and_saveexec_b32 s0, s22
	s_cbranch_execz .LBB41_70
.LBB41_92:
	s_waitcnt lgkmcnt(0)
	global_store_b16 v[0:1], v2, off offset:2688
	s_nop 0
	s_sendmsg sendmsg(MSG_DEALLOC_VGPRS)
	s_endpgm
	.section	.rodata,"a",@progbits
	.p2align	6, 0x0
	.amdhsa_kernel _ZN7rocprim17ROCPRIM_304000_NS6detail18single_scan_kernelILb0ENS1_19wrapped_scan_configINS0_14default_configEsEEPKsPsSt10multipliesIsEssEEvT1_mT4_T2_T3_
		.amdhsa_group_segment_fixed_size 2816
		.amdhsa_private_segment_fixed_size 0
		.amdhsa_kernarg_size 36
		.amdhsa_user_sgpr_count 15
		.amdhsa_user_sgpr_dispatch_ptr 0
		.amdhsa_user_sgpr_queue_ptr 0
		.amdhsa_user_sgpr_kernarg_segment_ptr 1
		.amdhsa_user_sgpr_dispatch_id 0
		.amdhsa_user_sgpr_private_segment_size 0
		.amdhsa_wavefront_size32 1
		.amdhsa_uses_dynamic_stack 0
		.amdhsa_enable_private_segment 0
		.amdhsa_system_sgpr_workgroup_id_x 1
		.amdhsa_system_sgpr_workgroup_id_y 0
		.amdhsa_system_sgpr_workgroup_id_z 0
		.amdhsa_system_sgpr_workgroup_info 0
		.amdhsa_system_vgpr_workitem_id 0
		.amdhsa_next_free_vgpr 34
		.amdhsa_next_free_sgpr 25
		.amdhsa_reserve_vcc 1
		.amdhsa_float_round_mode_32 0
		.amdhsa_float_round_mode_16_64 0
		.amdhsa_float_denorm_mode_32 3
		.amdhsa_float_denorm_mode_16_64 3
		.amdhsa_dx10_clamp 1
		.amdhsa_ieee_mode 1
		.amdhsa_fp16_overflow 0
		.amdhsa_workgroup_processor_mode 1
		.amdhsa_memory_ordered 1
		.amdhsa_forward_progress 0
		.amdhsa_shared_vgpr_count 0
		.amdhsa_exception_fp_ieee_invalid_op 0
		.amdhsa_exception_fp_denorm_src 0
		.amdhsa_exception_fp_ieee_div_zero 0
		.amdhsa_exception_fp_ieee_overflow 0
		.amdhsa_exception_fp_ieee_underflow 0
		.amdhsa_exception_fp_ieee_inexact 0
		.amdhsa_exception_int_div_zero 0
	.end_amdhsa_kernel
	.section	.text._ZN7rocprim17ROCPRIM_304000_NS6detail18single_scan_kernelILb0ENS1_19wrapped_scan_configINS0_14default_configEsEEPKsPsSt10multipliesIsEssEEvT1_mT4_T2_T3_,"axG",@progbits,_ZN7rocprim17ROCPRIM_304000_NS6detail18single_scan_kernelILb0ENS1_19wrapped_scan_configINS0_14default_configEsEEPKsPsSt10multipliesIsEssEEvT1_mT4_T2_T3_,comdat
.Lfunc_end41:
	.size	_ZN7rocprim17ROCPRIM_304000_NS6detail18single_scan_kernelILb0ENS1_19wrapped_scan_configINS0_14default_configEsEEPKsPsSt10multipliesIsEssEEvT1_mT4_T2_T3_, .Lfunc_end41-_ZN7rocprim17ROCPRIM_304000_NS6detail18single_scan_kernelILb0ENS1_19wrapped_scan_configINS0_14default_configEsEEPKsPsSt10multipliesIsEssEEvT1_mT4_T2_T3_
                                        ; -- End function
	.section	.AMDGPU.csdata,"",@progbits
; Kernel info:
; codeLenInByte = 3540
; NumSgprs: 27
; NumVgprs: 34
; ScratchSize: 0
; MemoryBound: 0
; FloatMode: 240
; IeeeMode: 1
; LDSByteSize: 2816 bytes/workgroup (compile time only)
; SGPRBlocks: 3
; VGPRBlocks: 4
; NumSGPRsForWavesPerEU: 27
; NumVGPRsForWavesPerEU: 34
; Occupancy: 16
; WaveLimiterHint : 0
; COMPUTE_PGM_RSRC2:SCRATCH_EN: 0
; COMPUTE_PGM_RSRC2:USER_SGPR: 15
; COMPUTE_PGM_RSRC2:TRAP_HANDLER: 0
; COMPUTE_PGM_RSRC2:TGID_X_EN: 1
; COMPUTE_PGM_RSRC2:TGID_Y_EN: 0
; COMPUTE_PGM_RSRC2:TGID_Z_EN: 0
; COMPUTE_PGM_RSRC2:TIDIG_COMP_CNT: 0
	.section	.text._ZN2at6native32tensor_kernel_scan_innermost_dimIsSt10multipliesIsEEEvPT_PKS4_jjjS4_T0_,"axG",@progbits,_ZN2at6native32tensor_kernel_scan_innermost_dimIsSt10multipliesIsEEEvPT_PKS4_jjjS4_T0_,comdat
	.protected	_ZN2at6native32tensor_kernel_scan_innermost_dimIsSt10multipliesIsEEEvPT_PKS4_jjjS4_T0_ ; -- Begin function _ZN2at6native32tensor_kernel_scan_innermost_dimIsSt10multipliesIsEEEvPT_PKS4_jjjS4_T0_
	.globl	_ZN2at6native32tensor_kernel_scan_innermost_dimIsSt10multipliesIsEEEvPT_PKS4_jjjS4_T0_
	.p2align	8
	.type	_ZN2at6native32tensor_kernel_scan_innermost_dimIsSt10multipliesIsEEEvPT_PKS4_jjjS4_T0_,@function
_ZN2at6native32tensor_kernel_scan_innermost_dimIsSt10multipliesIsEEEvPT_PKS4_jjjS4_T0_: ; @_ZN2at6native32tensor_kernel_scan_innermost_dimIsSt10multipliesIsEEEvPT_PKS4_jjjS4_T0_
; %bb.0:
	s_load_b256 s[16:23], s[0:1], 0x0
	v_bfe_u32 v9, v0, 10, 10
	s_waitcnt lgkmcnt(0)
	s_lshl_b32 s5, 2, s22
	s_mul_hi_u32 s2, s20, s21
	s_delay_alu instid0(VALU_DEP_1) | instskip(SKIP_3) | instid1(VALU_DEP_1)
	v_mul_lo_u32 v1, s5, v9
	s_mov_b32 s6, s20
	s_cmp_lg_u32 s2, 0
	s_mov_b32 s2, -1
	v_lshl_add_u32 v10, v1, 1, 0
	s_cbranch_scc1 .LBB42_26
; %bb.1:
	s_load_b32 s4, s[0:1], 0x2c
	s_add_u32 s2, s0, 32
	s_addc_u32 s3, s1, 0
	s_waitcnt lgkmcnt(0)
	s_lshr_b32 s4, s4, 16
	s_delay_alu instid0(SALU_CYCLE_1) | instskip(NEXT) | instid1(SALU_CYCLE_1)
	s_mul_i32 s7, s15, s4
	s_cmp_ge_u32 s7, s20
	s_cbranch_scc1 .LBB42_25
; %bb.2:
	s_load_b32 s10, s[2:3], 0x0
	v_dual_mov_b32 v2, 0 :: v_dual_and_b32 v5, 0x3ff, v0
	v_add_nc_u32_e32 v6, -2, v10
	s_lshl_b32 s8, 1, s22
	s_cmp_lg_u32 s21, 0
	s_delay_alu instid0(VALU_DEP_2)
	v_lshl_add_u32 v7, v5, 1, v10
	v_cmp_eq_u32_e64 s2, 0, v5
	v_lshl_add_u32 v8, s5, 1, v6
	s_cselect_b32 s9, -1, 0
	s_add_i32 s11, s22, 1
	v_lshl_add_u32 v11, s8, 1, v7
	s_waitcnt lgkmcnt(0)
	s_mul_i32 s10, s10, s4
	s_branch .LBB42_4
.LBB42_3:                               ;   in Loop: Header=BB42_4 Depth=1
	s_add_i32 s7, s7, s10
	s_delay_alu instid0(SALU_CYCLE_1)
	s_cmp_ge_u32 s7, s20
	s_cbranch_scc1 .LBB42_25
.LBB42_4:                               ; =>This Loop Header: Depth=1
                                        ;     Child Loop BB42_7 Depth 2
                                        ;       Child Loop BB42_16 Depth 3
	s_and_not1_b32 vcc_lo, exec_lo, s9
	s_cbranch_vccnz .LBB42_3
; %bb.5:                                ;   in Loop: Header=BB42_4 Depth=1
	v_add_nc_u32_e32 v12, s7, v9
	v_mov_b32_e32 v16, s23
	s_mov_b32 s12, 0
	s_delay_alu instid0(VALU_DEP_2) | instskip(SKIP_2) | instid1(VALU_DEP_3)
	v_mul_lo_u32 v1, v12, s21
	v_cmp_gt_u32_e32 vcc_lo, s20, v12
	v_cmp_le_u32_e64 s3, s20, v12
	v_lshlrev_b64 v[3:4], 1, v[1:2]
	s_delay_alu instid0(VALU_DEP_1) | instskip(NEXT) | instid1(VALU_DEP_1)
	v_add_co_u32 v12, s4, s18, v3
	v_add_co_ci_u32_e64 v13, s4, s19, v4, s4
	v_add_co_u32 v14, s4, s16, v3
	s_delay_alu instid0(VALU_DEP_1)
	v_add_co_ci_u32_e64 v15, s4, s17, v4, s4
	s_branch .LBB42_7
.LBB42_6:                               ;   in Loop: Header=BB42_7 Depth=2
	s_or_b32 exec_lo, exec_lo, s13
	ds_load_u16 v16, v8
	s_add_i32 s12, s12, s5
	s_waitcnt lgkmcnt(0)
	s_waitcnt_vscnt null, 0x0
	s_cmp_ge_u32 s12, s21
	s_barrier
	buffer_gl0_inv
	s_cbranch_scc1 .LBB42_3
.LBB42_7:                               ;   Parent Loop BB42_4 Depth=1
                                        ; =>  This Loop Header: Depth=2
                                        ;       Child Loop BB42_16 Depth 3
	v_add_nc_u32_e32 v1, s12, v5
	s_delay_alu instid0(VALU_DEP_1)
	v_add_nc_u32_e32 v3, s8, v1
	s_and_saveexec_b32 s13, vcc_lo
	s_cbranch_execz .LBB42_14
; %bb.8:                                ;   in Loop: Header=BB42_7 Depth=2
	v_mov_b32_e32 v4, s23
	s_mov_b32 s14, exec_lo
	v_cmpx_gt_u32_e64 s21, v1
	s_cbranch_execz .LBB42_10
; %bb.9:                                ;   in Loop: Header=BB42_7 Depth=2
	v_lshlrev_b64 v[17:18], 1, v[1:2]
	s_delay_alu instid0(VALU_DEP_1) | instskip(NEXT) | instid1(VALU_DEP_1)
	v_add_co_u32 v17, s4, v12, v17
	v_add_co_ci_u32_e64 v18, s4, v13, v18, s4
	global_load_u16 v4, v[17:18], off
.LBB42_10:                              ;   in Loop: Header=BB42_7 Depth=2
	s_or_b32 exec_lo, exec_lo, s14
	v_mov_b32_e32 v17, s23
	s_mov_b32 s14, exec_lo
	s_waitcnt vmcnt(0)
	ds_store_b16 v7, v4
	v_cmpx_gt_u32_e64 s21, v3
	s_cbranch_execz .LBB42_12
; %bb.11:                               ;   in Loop: Header=BB42_7 Depth=2
	v_mov_b32_e32 v4, v2
	s_delay_alu instid0(VALU_DEP_1) | instskip(NEXT) | instid1(VALU_DEP_1)
	v_lshlrev_b64 v[17:18], 1, v[3:4]
	v_add_co_u32 v17, s4, v12, v17
	s_delay_alu instid0(VALU_DEP_1)
	v_add_co_ci_u32_e64 v18, s4, v13, v18, s4
	global_load_u16 v17, v[17:18], off
.LBB42_12:                              ;   in Loop: Header=BB42_7 Depth=2
	s_or_b32 exec_lo, exec_lo, s14
	s_waitcnt vmcnt(0)
	ds_store_b16 v11, v17
	s_and_b32 exec_lo, exec_lo, s2
	s_cbranch_execz .LBB42_14
; %bb.13:                               ;   in Loop: Header=BB42_7 Depth=2
	ds_load_u16 v4, v10
	s_waitcnt lgkmcnt(0)
	v_mul_lo_u16 v4, v4, v16
	ds_store_b16 v10, v4
.LBB42_14:                              ;   in Loop: Header=BB42_7 Depth=2
	s_or_b32 exec_lo, exec_lo, s13
	v_mov_b32_e32 v4, 0
	s_mov_b32 s13, 0
	s_waitcnt lgkmcnt(0)
	s_barrier
	buffer_gl0_inv
	s_set_inst_prefetch_distance 0x1
	s_branch .LBB42_16
	.p2align	6
.LBB42_15:                              ;   in Loop: Header=BB42_16 Depth=3
	s_or_b32 exec_lo, exec_lo, s4
	s_delay_alu instid0(VALU_DEP_1) | instskip(SKIP_4) | instid1(SALU_CYCLE_1)
	v_cmp_eq_u32_e64 s4, s11, v4
	s_waitcnt lgkmcnt(0)
	s_barrier
	buffer_gl0_inv
	s_or_b32 s13, s4, s13
	s_and_not1_b32 exec_lo, exec_lo, s13
	s_cbranch_execz .LBB42_20
.LBB42_16:                              ;   Parent Loop BB42_4 Depth=1
                                        ;     Parent Loop BB42_7 Depth=2
                                        ; =>    This Inner Loop Header: Depth=3
	v_add_nc_u32_e32 v16, 1, v4
	s_and_saveexec_b32 s4, s3
	s_delay_alu instid0(SALU_CYCLE_1)
	s_xor_b32 s4, exec_lo, s4
; %bb.17:                               ;   in Loop: Header=BB42_16 Depth=3
	v_add_nc_u32_e32 v4, 1, v4
                                        ; implicit-def: $vgpr16
; %bb.18:                               ;   in Loop: Header=BB42_16 Depth=3
	s_and_not1_saveexec_b32 s4, s4
	s_cbranch_execz .LBB42_15
; %bb.19:                               ;   in Loop: Header=BB42_16 Depth=3
	s_delay_alu instid0(VALU_DEP_1) | instskip(SKIP_2) | instid1(VALU_DEP_2)
	v_lshlrev_b32_e64 v17, v4, 1
	v_lshrrev_b32_e32 v18, v4, v5
	v_bfm_b32 v4, v4, 0
	v_lshl_or_b32 v17, v18, v16, v17
	s_delay_alu instid0(VALU_DEP_2) | instskip(NEXT) | instid1(VALU_DEP_2)
	v_and_b32_e32 v4, v4, v5
	v_lshlrev_b32_e32 v17, 1, v17
	s_delay_alu instid0(VALU_DEP_2) | instskip(NEXT) | instid1(VALU_DEP_1)
	v_lshlrev_b32_e32 v4, 1, v4
	v_add3_u32 v18, v10, v17, v4
	v_add_nc_u32_e32 v4, v6, v17
	ds_load_u16 v17, v18
	ds_load_u16 v4, v4
	s_waitcnt lgkmcnt(0)
	v_mul_lo_u16 v17, v4, v17
	v_mov_b32_e32 v4, v16
	ds_store_b16 v18, v17
	s_branch .LBB42_15
.LBB42_20:                              ;   in Loop: Header=BB42_7 Depth=2
	s_set_inst_prefetch_distance 0x2
	s_or_b32 exec_lo, exec_lo, s13
	s_and_saveexec_b32 s13, vcc_lo
	s_cbranch_execz .LBB42_6
; %bb.21:                               ;   in Loop: Header=BB42_7 Depth=2
	s_mov_b32 s14, exec_lo
	v_cmpx_gt_u32_e64 s21, v1
	s_cbranch_execz .LBB42_23
; %bb.22:                               ;   in Loop: Header=BB42_7 Depth=2
	ds_load_u16 v4, v7
	v_lshlrev_b64 v[16:17], 1, v[1:2]
	s_delay_alu instid0(VALU_DEP_1) | instskip(NEXT) | instid1(VALU_DEP_1)
	v_add_co_u32 v16, s4, v14, v16
	v_add_co_ci_u32_e64 v17, s4, v15, v17, s4
	s_waitcnt lgkmcnt(0)
	global_store_b16 v[16:17], v4, off
.LBB42_23:                              ;   in Loop: Header=BB42_7 Depth=2
	s_or_b32 exec_lo, exec_lo, s14
	v_cmp_gt_u32_e64 s4, s21, v3
	s_delay_alu instid0(VALU_DEP_1)
	s_and_b32 exec_lo, exec_lo, s4
	s_cbranch_execz .LBB42_6
; %bb.24:                               ;   in Loop: Header=BB42_7 Depth=2
	ds_load_u16 v1, v11
	v_mov_b32_e32 v4, v2
	s_delay_alu instid0(VALU_DEP_1) | instskip(NEXT) | instid1(VALU_DEP_1)
	v_lshlrev_b64 v[3:4], 1, v[3:4]
	v_add_co_u32 v3, s4, v14, v3
	s_delay_alu instid0(VALU_DEP_1)
	v_add_co_ci_u32_e64 v4, s4, v15, v4, s4
	s_waitcnt lgkmcnt(0)
	global_store_b16 v[3:4], v1, off
	s_branch .LBB42_6
.LBB42_25:
	s_mov_b32 s2, 0
.LBB42_26:
	s_delay_alu instid0(SALU_CYCLE_1)
	s_and_not1_b32 vcc_lo, exec_lo, s2
	s_cbranch_vccnz .LBB42_53
; %bb.27:
	s_load_b32 s2, s[0:1], 0x2c
	s_add_u32 s0, s0, 32
	s_addc_u32 s1, s1, 0
	s_mov_b32 s7, 0
	s_waitcnt lgkmcnt(0)
	s_lshr_b32 s2, s2, 16
	s_delay_alu instid0(SALU_CYCLE_1) | instskip(SKIP_1) | instid1(SALU_CYCLE_1)
	s_mul_hi_u32 s5, s2, s15
	s_mul_i32 s4, s2, s15
	v_cmp_ge_u64_e64 s3, s[4:5], s[6:7]
	s_delay_alu instid0(VALU_DEP_1)
	s_and_b32 vcc_lo, exec_lo, s3
	s_cbranch_vccnz .LBB42_53
; %bb.28:
	s_load_b32 s1, s[0:1], 0x0
	v_dual_mov_b32 v1, 0 :: v_dual_and_b32 v0, 0x3ff, v0
	s_lshl_b32 s8, 1, s22
	s_and_b32 s2, 0xffff, s2
	s_ashr_i32 s9, s8, 31
	s_cmp_lg_u32 s21, 0
	v_lshl_add_u32 v11, v0, 1, v10
	s_cselect_b32 s3, -1, 0
	s_lshl_b64 s[12:13], s[8:9], 1
	v_cmp_eq_u32_e64 s0, 0, v0
	s_lshl_b32 s11, s12, 1
	v_lshl_add_u32 v13, s8, 1, v11
	v_add3_u32 v12, v10, s11, -2
	s_mov_b32 s10, s21
	s_mov_b32 s11, s7
	s_add_i32 s21, s22, 1
	s_waitcnt lgkmcnt(0)
	s_mul_i32 s20, s1, s2
	s_branch .LBB42_30
.LBB42_29:                              ;   in Loop: Header=BB42_30 Depth=1
	s_add_u32 s4, s4, s20
	s_addc_u32 s5, s5, 0
	s_delay_alu instid0(SALU_CYCLE_1) | instskip(NEXT) | instid1(VALU_DEP_1)
	v_cmp_ge_u64_e64 s1, s[4:5], s[6:7]
	s_and_b32 vcc_lo, exec_lo, s1
	s_cbranch_vccnz .LBB42_53
.LBB42_30:                              ; =>This Loop Header: Depth=1
                                        ;     Child Loop BB42_33 Depth 2
                                        ;       Child Loop BB42_43 Depth 3
	s_and_not1_b32 vcc_lo, exec_lo, s3
	s_cbranch_vccnz .LBB42_29
; %bb.31:                               ;   in Loop: Header=BB42_30 Depth=1
	v_add_co_u32 v2, s1, s4, v9
	s_delay_alu instid0(VALU_DEP_1) | instskip(SKIP_1) | instid1(VALU_DEP_2)
	v_add_co_ci_u32_e64 v3, null, s5, 0, s1
	s_mov_b64 s[14:15], 0
	v_mad_u64_u32 v[4:5], null, v2, s10, 0
	s_delay_alu instid0(VALU_DEP_2) | instskip(SKIP_1) | instid1(VALU_DEP_3)
	v_cmp_gt_u64_e64 s1, s[6:7], v[2:3]
	v_cmp_le_u64_e64 s2, s[6:7], v[2:3]
	v_mad_u64_u32 v[6:7], null, v3, s10, v[5:6]
	s_delay_alu instid0(VALU_DEP_1) | instskip(NEXT) | instid1(VALU_DEP_1)
	v_dual_mov_b32 v5, v6 :: v_dual_mov_b32 v6, s23
	v_lshlrev_b64 v[4:5], 1, v[4:5]
	s_delay_alu instid0(VALU_DEP_1) | instskip(NEXT) | instid1(VALU_DEP_2)
	v_add_co_u32 v14, vcc_lo, s18, v4
	v_add_co_ci_u32_e32 v15, vcc_lo, s19, v5, vcc_lo
	v_add_co_u32 v16, vcc_lo, s16, v4
	v_add_co_ci_u32_e32 v17, vcc_lo, s17, v5, vcc_lo
	s_branch .LBB42_33
.LBB42_32:                              ;   in Loop: Header=BB42_33 Depth=2
	s_or_b32 exec_lo, exec_lo, s22
	ds_load_u16 v6, v12
	s_add_u32 s14, s14, s12
	s_addc_u32 s15, s15, s13
	s_waitcnt lgkmcnt(0)
	s_waitcnt_vscnt null, 0x0
	v_cmp_ge_u64_e64 s22, s[14:15], s[10:11]
	s_barrier
	buffer_gl0_inv
	s_and_b32 vcc_lo, exec_lo, s22
	s_cbranch_vccnz .LBB42_29
.LBB42_33:                              ;   Parent Loop BB42_30 Depth=1
                                        ; =>  This Loop Header: Depth=2
                                        ;       Child Loop BB42_43 Depth 3
	v_add_co_u32 v4, s22, s14, v0
	s_delay_alu instid0(VALU_DEP_1) | instskip(NEXT) | instid1(VALU_DEP_2)
	v_add_co_ci_u32_e64 v5, null, s15, 0, s22
	v_add_co_u32 v2, vcc_lo, v4, s8
	s_delay_alu instid0(VALU_DEP_2)
	v_add_co_ci_u32_e32 v3, vcc_lo, s9, v5, vcc_lo
	s_and_saveexec_b32 s22, s1
	s_cbranch_execz .LBB42_40
; %bb.34:                               ;   in Loop: Header=BB42_33 Depth=2
	v_mov_b32_e32 v7, s23
	s_mov_b32 s24, exec_lo
	v_cmpx_gt_u64_e64 s[10:11], v[4:5]
	s_cbranch_execz .LBB42_36
; %bb.35:                               ;   in Loop: Header=BB42_33 Depth=2
	v_lshlrev_b64 v[7:8], 1, v[4:5]
	s_delay_alu instid0(VALU_DEP_1) | instskip(NEXT) | instid1(VALU_DEP_2)
	v_add_co_u32 v7, vcc_lo, v14, v7
	v_add_co_ci_u32_e32 v8, vcc_lo, v15, v8, vcc_lo
	global_load_u16 v7, v[7:8], off
.LBB42_36:                              ;   in Loop: Header=BB42_33 Depth=2
	s_or_b32 exec_lo, exec_lo, s24
	v_mov_b32_e32 v8, s23
	s_mov_b32 s24, exec_lo
	s_waitcnt vmcnt(0)
	ds_store_b16 v11, v7
	v_cmpx_gt_u64_e64 s[10:11], v[2:3]
	s_cbranch_execz .LBB42_38
; %bb.37:                               ;   in Loop: Header=BB42_33 Depth=2
	v_lshlrev_b64 v[7:8], 1, v[2:3]
	s_delay_alu instid0(VALU_DEP_1) | instskip(NEXT) | instid1(VALU_DEP_2)
	v_add_co_u32 v7, vcc_lo, v14, v7
	v_add_co_ci_u32_e32 v8, vcc_lo, v15, v8, vcc_lo
	global_load_u16 v8, v[7:8], off
.LBB42_38:                              ;   in Loop: Header=BB42_33 Depth=2
	s_or_b32 exec_lo, exec_lo, s24
	s_waitcnt vmcnt(0)
	ds_store_b16 v13, v8
	s_and_b32 exec_lo, exec_lo, s0
	s_cbranch_execz .LBB42_40
; %bb.39:                               ;   in Loop: Header=BB42_33 Depth=2
	ds_load_u16 v7, v10
	s_waitcnt lgkmcnt(0)
	v_mul_lo_u16 v6, v7, v6
	ds_store_b16 v10, v6
.LBB42_40:                              ;   in Loop: Header=BB42_33 Depth=2
	s_or_b32 exec_lo, exec_lo, s22
	v_mov_b32_e32 v19, 0
	s_mov_b32 s22, 0
	s_waitcnt lgkmcnt(0)
	s_barrier
	buffer_gl0_inv
	s_branch .LBB42_43
.LBB42_41:                              ;   in Loop: Header=BB42_43 Depth=3
	s_or_b32 exec_lo, exec_lo, s25
	v_lshrrev_b32_e32 v8, v19, v0
	s_delay_alu instid0(VALU_DEP_1) | instskip(NEXT) | instid1(VALU_DEP_1)
	v_lshl_or_b32 v6, v8, v18, v6
	v_lshl_add_u32 v6, v6, 1, v10
	s_delay_alu instid0(VALU_DEP_1)
	v_lshl_add_u32 v7, v7, 1, v6
	v_add_nc_u32_e32 v6, -2, v6
	ds_load_u16 v8, v7
	ds_load_u16 v6, v6
	s_waitcnt lgkmcnt(0)
	v_mul_lo_u16 v6, v6, v8
	ds_store_b16 v7, v6
.LBB42_42:                              ;   in Loop: Header=BB42_43 Depth=3
	s_or_b32 exec_lo, exec_lo, s24
	s_delay_alu instid0(VALU_DEP_1)
	v_cmp_eq_u32_e32 vcc_lo, s21, v18
	v_mov_b32_e32 v19, v18
	s_waitcnt lgkmcnt(0)
	s_barrier
	buffer_gl0_inv
	s_or_b32 s22, vcc_lo, s22
	s_delay_alu instid0(SALU_CYCLE_1)
	s_and_not1_b32 exec_lo, exec_lo, s22
	s_cbranch_execz .LBB42_48
.LBB42_43:                              ;   Parent Loop BB42_30 Depth=1
                                        ;     Parent Loop BB42_33 Depth=2
                                        ; =>    This Inner Loop Header: Depth=3
	v_add_nc_u32_e32 v18, 1, v19
	s_and_saveexec_b32 s24, s2
	s_delay_alu instid0(SALU_CYCLE_1)
	s_xor_b32 s24, exec_lo, s24
; %bb.44:                               ;   in Loop: Header=BB42_43 Depth=3
	v_add_nc_u32_e32 v18, 1, v19
                                        ; implicit-def: $vgpr19
; %bb.45:                               ;   in Loop: Header=BB42_43 Depth=3
	s_and_not1_saveexec_b32 s24, s24
	s_cbranch_execz .LBB42_42
; %bb.46:                               ;   in Loop: Header=BB42_43 Depth=3
	v_lshlrev_b32_e64 v6, v19, 1
	s_delay_alu instid0(VALU_DEP_1) | instskip(NEXT) | instid1(VALU_DEP_1)
	v_ashrrev_i32_e32 v7, 31, v6
	v_cmp_ge_u64_e32 vcc_lo, v[0:1], v[6:7]
	v_dual_mov_b32 v8, v1 :: v_dual_mov_b32 v7, v0
	s_and_saveexec_b32 s25, vcc_lo
	s_cbranch_execz .LBB42_41
; %bb.47:                               ;   in Loop: Header=BB42_43 Depth=3
	v_cvt_f32_u32_e32 v7, v6
	v_sub_nc_u32_e32 v8, 0, v6
	s_delay_alu instid0(VALU_DEP_2) | instskip(SKIP_2) | instid1(VALU_DEP_1)
	v_rcp_iflag_f32_e32 v7, v7
	s_waitcnt_depctr 0xfff
	v_mul_f32_e32 v7, 0x4f7ffffe, v7
	v_cvt_u32_f32_e32 v7, v7
	s_delay_alu instid0(VALU_DEP_1) | instskip(NEXT) | instid1(VALU_DEP_1)
	v_mul_lo_u32 v8, v8, v7
	v_mul_hi_u32 v8, v7, v8
	s_delay_alu instid0(VALU_DEP_1) | instskip(NEXT) | instid1(VALU_DEP_1)
	v_add_nc_u32_e32 v7, v7, v8
	v_mul_hi_u32 v7, v0, v7
	s_delay_alu instid0(VALU_DEP_1) | instskip(NEXT) | instid1(VALU_DEP_1)
	v_mul_lo_u32 v7, v7, v6
	v_sub_nc_u32_e32 v7, v0, v7
	s_delay_alu instid0(VALU_DEP_1) | instskip(SKIP_1) | instid1(VALU_DEP_2)
	v_sub_nc_u32_e32 v8, v7, v6
	v_cmp_ge_u32_e32 vcc_lo, v7, v6
	v_cndmask_b32_e32 v7, v7, v8, vcc_lo
	s_delay_alu instid0(VALU_DEP_1) | instskip(SKIP_1) | instid1(VALU_DEP_2)
	v_sub_nc_u32_e32 v8, v7, v6
	v_cmp_ge_u32_e32 vcc_lo, v7, v6
	v_cndmask_b32_e32 v7, v7, v8, vcc_lo
	s_branch .LBB42_41
.LBB42_48:                              ;   in Loop: Header=BB42_33 Depth=2
	s_or_b32 exec_lo, exec_lo, s22
	s_and_saveexec_b32 s22, s1
	s_cbranch_execz .LBB42_32
; %bb.49:                               ;   in Loop: Header=BB42_33 Depth=2
	s_mov_b32 s24, exec_lo
	v_cmpx_gt_u64_e64 s[10:11], v[4:5]
	s_cbranch_execz .LBB42_51
; %bb.50:                               ;   in Loop: Header=BB42_33 Depth=2
	ds_load_u16 v6, v11
	v_lshlrev_b64 v[4:5], 1, v[4:5]
	s_delay_alu instid0(VALU_DEP_1) | instskip(NEXT) | instid1(VALU_DEP_2)
	v_add_co_u32 v4, vcc_lo, v16, v4
	v_add_co_ci_u32_e32 v5, vcc_lo, v17, v5, vcc_lo
	s_waitcnt lgkmcnt(0)
	global_store_b16 v[4:5], v6, off
.LBB42_51:                              ;   in Loop: Header=BB42_33 Depth=2
	s_or_b32 exec_lo, exec_lo, s24
	v_cmp_gt_u64_e32 vcc_lo, s[10:11], v[2:3]
	s_and_b32 exec_lo, exec_lo, vcc_lo
	s_cbranch_execz .LBB42_32
; %bb.52:                               ;   in Loop: Header=BB42_33 Depth=2
	ds_load_u16 v4, v13
	v_lshlrev_b64 v[2:3], 1, v[2:3]
	s_delay_alu instid0(VALU_DEP_1) | instskip(NEXT) | instid1(VALU_DEP_2)
	v_add_co_u32 v2, vcc_lo, v16, v2
	v_add_co_ci_u32_e32 v3, vcc_lo, v17, v3, vcc_lo
	s_waitcnt lgkmcnt(0)
	global_store_b16 v[2:3], v4, off
	s_branch .LBB42_32
.LBB42_53:
	s_endpgm
	.section	.rodata,"a",@progbits
	.p2align	6, 0x0
	.amdhsa_kernel _ZN2at6native32tensor_kernel_scan_innermost_dimIsSt10multipliesIsEEEvPT_PKS4_jjjS4_T0_
		.amdhsa_group_segment_fixed_size 0
		.amdhsa_private_segment_fixed_size 0
		.amdhsa_kernarg_size 288
		.amdhsa_user_sgpr_count 15
		.amdhsa_user_sgpr_dispatch_ptr 0
		.amdhsa_user_sgpr_queue_ptr 0
		.amdhsa_user_sgpr_kernarg_segment_ptr 1
		.amdhsa_user_sgpr_dispatch_id 0
		.amdhsa_user_sgpr_private_segment_size 0
		.amdhsa_wavefront_size32 1
		.amdhsa_uses_dynamic_stack 0
		.amdhsa_enable_private_segment 0
		.amdhsa_system_sgpr_workgroup_id_x 1
		.amdhsa_system_sgpr_workgroup_id_y 0
		.amdhsa_system_sgpr_workgroup_id_z 0
		.amdhsa_system_sgpr_workgroup_info 0
		.amdhsa_system_vgpr_workitem_id 1
		.amdhsa_next_free_vgpr 20
		.amdhsa_next_free_sgpr 26
		.amdhsa_reserve_vcc 1
		.amdhsa_float_round_mode_32 0
		.amdhsa_float_round_mode_16_64 0
		.amdhsa_float_denorm_mode_32 3
		.amdhsa_float_denorm_mode_16_64 3
		.amdhsa_dx10_clamp 1
		.amdhsa_ieee_mode 1
		.amdhsa_fp16_overflow 0
		.amdhsa_workgroup_processor_mode 1
		.amdhsa_memory_ordered 1
		.amdhsa_forward_progress 0
		.amdhsa_shared_vgpr_count 0
		.amdhsa_exception_fp_ieee_invalid_op 0
		.amdhsa_exception_fp_denorm_src 0
		.amdhsa_exception_fp_ieee_div_zero 0
		.amdhsa_exception_fp_ieee_overflow 0
		.amdhsa_exception_fp_ieee_underflow 0
		.amdhsa_exception_fp_ieee_inexact 0
		.amdhsa_exception_int_div_zero 0
	.end_amdhsa_kernel
	.section	.text._ZN2at6native32tensor_kernel_scan_innermost_dimIsSt10multipliesIsEEEvPT_PKS4_jjjS4_T0_,"axG",@progbits,_ZN2at6native32tensor_kernel_scan_innermost_dimIsSt10multipliesIsEEEvPT_PKS4_jjjS4_T0_,comdat
.Lfunc_end42:
	.size	_ZN2at6native32tensor_kernel_scan_innermost_dimIsSt10multipliesIsEEEvPT_PKS4_jjjS4_T0_, .Lfunc_end42-_ZN2at6native32tensor_kernel_scan_innermost_dimIsSt10multipliesIsEEEvPT_PKS4_jjjS4_T0_
                                        ; -- End function
	.section	.AMDGPU.csdata,"",@progbits
; Kernel info:
; codeLenInByte = 2024
; NumSgprs: 28
; NumVgprs: 20
; ScratchSize: 0
; MemoryBound: 0
; FloatMode: 240
; IeeeMode: 1
; LDSByteSize: 0 bytes/workgroup (compile time only)
; SGPRBlocks: 3
; VGPRBlocks: 2
; NumSGPRsForWavesPerEU: 28
; NumVGPRsForWavesPerEU: 20
; Occupancy: 16
; WaveLimiterHint : 0
; COMPUTE_PGM_RSRC2:SCRATCH_EN: 0
; COMPUTE_PGM_RSRC2:USER_SGPR: 15
; COMPUTE_PGM_RSRC2:TRAP_HANDLER: 0
; COMPUTE_PGM_RSRC2:TGID_X_EN: 1
; COMPUTE_PGM_RSRC2:TGID_Y_EN: 0
; COMPUTE_PGM_RSRC2:TGID_Z_EN: 0
; COMPUTE_PGM_RSRC2:TIDIG_COMP_CNT: 1
	.section	.text._ZN2at6native28tensor_kernel_scan_outer_dimIsjSt10multipliesIsEEEvPT_PKS4_jjjS4_T1_,"axG",@progbits,_ZN2at6native28tensor_kernel_scan_outer_dimIsjSt10multipliesIsEEEvPT_PKS4_jjjS4_T1_,comdat
	.protected	_ZN2at6native28tensor_kernel_scan_outer_dimIsjSt10multipliesIsEEEvPT_PKS4_jjjS4_T1_ ; -- Begin function _ZN2at6native28tensor_kernel_scan_outer_dimIsjSt10multipliesIsEEEvPT_PKS4_jjjS4_T1_
	.globl	_ZN2at6native28tensor_kernel_scan_outer_dimIsjSt10multipliesIsEEEvPT_PKS4_jjjS4_T1_
	.p2align	8
	.type	_ZN2at6native28tensor_kernel_scan_outer_dimIsjSt10multipliesIsEEEvPT_PKS4_jjjS4_T1_,@function
_ZN2at6native28tensor_kernel_scan_outer_dimIsjSt10multipliesIsEEEvPT_PKS4_jjjS4_T1_: ; @_ZN2at6native28tensor_kernel_scan_outer_dimIsjSt10multipliesIsEEEvPT_PKS4_jjjS4_T1_
; %bb.0:
	s_load_b128 s[4:7], s[0:1], 0x10
	s_waitcnt lgkmcnt(0)
	s_cmp_ge_u32 s14, s4
	s_cbranch_scc1 .LBB43_9
; %bb.1:
	s_clause 0x2
	s_load_b32 s12, s[0:1], 0x2c
	s_load_b32 s20, s[0:1], 0x20
	s_load_b128 s[8:11], s[0:1], 0x0
	s_add_u32 s2, s0, 32
	s_addc_u32 s3, s1, 0
	s_mul_i32 s0, s14, s6
	v_mov_b32_e32 v3, 0
	s_mul_i32 s18, s0, s5
	s_mov_b32 s13, 0
	s_waitcnt lgkmcnt(0)
	s_and_b32 s1, s12, 0xffff
	s_mov_b32 s12, s5
	v_mad_u64_u32 v[1:2], null, s15, s1, v[0:1]
	s_cmp_lg_u32 s6, 0
	s_mul_i32 s21, s20, s6
	s_cselect_b32 s15, -1, 0
	s_mul_i32 s21, s21, s5
	s_lshl_b64 s[16:17], s[12:13], 1
	s_mov_b32 s12, s18
	s_delay_alu instid0(VALU_DEP_1)
	v_cmp_gt_u32_e64 s0, s5, v1
	s_set_inst_prefetch_distance 0x1
	s_branch .LBB43_3
	.p2align	6
.LBB43_2:                               ;   in Loop: Header=BB43_3 Depth=1
	s_or_b32 exec_lo, exec_lo, s22
	s_add_i32 s14, s20, s14
	s_add_i32 s12, s12, s21
	s_cmp_ge_u32 s14, s4
	s_cbranch_scc1 .LBB43_9
.LBB43_3:                               ; =>This Loop Header: Depth=1
                                        ;     Child Loop BB43_6 Depth 2
                                        ;       Child Loop BB43_8 Depth 3
	s_delay_alu instid0(VALU_DEP_1)
	s_and_saveexec_b32 s22, s0
	s_cbranch_execz .LBB43_2
; %bb.4:                                ;   in Loop: Header=BB43_3 Depth=1
	s_load_b32 s23, s[2:3], 0x4
	v_mov_b32_e32 v2, v1
	s_lshl_b64 s[18:19], s[12:13], 1
	s_mov_b32 s24, 0
	s_waitcnt lgkmcnt(0)
	s_mul_i32 s23, s23, s1
	s_branch .LBB43_6
	.p2align	6
.LBB43_5:                               ;   in Loop: Header=BB43_6 Depth=2
	v_add_nc_u32_e32 v2, s23, v2
	s_delay_alu instid0(VALU_DEP_1) | instskip(SKIP_1) | instid1(SALU_CYCLE_1)
	v_cmp_le_u32_e32 vcc_lo, s5, v2
	s_or_b32 s24, vcc_lo, s24
	s_and_not1_b32 exec_lo, exec_lo, s24
	s_cbranch_execz .LBB43_2
.LBB43_6:                               ;   Parent Loop BB43_3 Depth=1
                                        ; =>  This Loop Header: Depth=2
                                        ;       Child Loop BB43_8 Depth 3
	s_and_not1_b32 vcc_lo, exec_lo, s15
	s_cbranch_vccnz .LBB43_5
; %bb.7:                                ;   in Loop: Header=BB43_6 Depth=2
	v_lshlrev_b64 v[4:5], 1, v[2:3]
	s_mov_b32 s25, s6
	s_delay_alu instid0(VALU_DEP_1) | instskip(NEXT) | instid1(VALU_DEP_2)
	v_add_co_u32 v0, vcc_lo, s18, v4
	v_add_co_ci_u32_e32 v4, vcc_lo, s19, v5, vcc_lo
	v_mov_b32_e32 v5, s7
	.p2align	6
.LBB43_8:                               ;   Parent Loop BB43_3 Depth=1
                                        ;     Parent Loop BB43_6 Depth=2
                                        ; =>    This Inner Loop Header: Depth=3
	s_delay_alu instid0(VALU_DEP_3) | instskip(NEXT) | instid1(VALU_DEP_3)
	v_add_co_u32 v6, vcc_lo, s10, v0
	v_add_co_ci_u32_e32 v7, vcc_lo, s11, v4, vcc_lo
	s_add_i32 s25, s25, -1
	s_delay_alu instid0(SALU_CYCLE_1)
	s_cmp_eq_u32 s25, 0
	global_load_u16 v8, v[6:7], off
	v_add_co_u32 v6, vcc_lo, s8, v0
	v_add_co_ci_u32_e32 v7, vcc_lo, s9, v4, vcc_lo
	v_add_co_u32 v0, vcc_lo, v0, s16
	v_add_co_ci_u32_e32 v4, vcc_lo, s17, v4, vcc_lo
	s_waitcnt vmcnt(0)
	v_mul_lo_u16 v5, v8, v5
	global_store_b16 v[6:7], v5, off
	s_cbranch_scc0 .LBB43_8
	s_branch .LBB43_5
.LBB43_9:
	s_set_inst_prefetch_distance 0x2
	s_nop 0
	s_sendmsg sendmsg(MSG_DEALLOC_VGPRS)
	s_endpgm
	.section	.rodata,"a",@progbits
	.p2align	6, 0x0
	.amdhsa_kernel _ZN2at6native28tensor_kernel_scan_outer_dimIsjSt10multipliesIsEEEvPT_PKS4_jjjS4_T1_
		.amdhsa_group_segment_fixed_size 0
		.amdhsa_private_segment_fixed_size 0
		.amdhsa_kernarg_size 288
		.amdhsa_user_sgpr_count 14
		.amdhsa_user_sgpr_dispatch_ptr 0
		.amdhsa_user_sgpr_queue_ptr 0
		.amdhsa_user_sgpr_kernarg_segment_ptr 1
		.amdhsa_user_sgpr_dispatch_id 0
		.amdhsa_user_sgpr_private_segment_size 0
		.amdhsa_wavefront_size32 1
		.amdhsa_uses_dynamic_stack 0
		.amdhsa_enable_private_segment 0
		.amdhsa_system_sgpr_workgroup_id_x 1
		.amdhsa_system_sgpr_workgroup_id_y 1
		.amdhsa_system_sgpr_workgroup_id_z 0
		.amdhsa_system_sgpr_workgroup_info 0
		.amdhsa_system_vgpr_workitem_id 0
		.amdhsa_next_free_vgpr 9
		.amdhsa_next_free_sgpr 26
		.amdhsa_reserve_vcc 1
		.amdhsa_float_round_mode_32 0
		.amdhsa_float_round_mode_16_64 0
		.amdhsa_float_denorm_mode_32 3
		.amdhsa_float_denorm_mode_16_64 3
		.amdhsa_dx10_clamp 1
		.amdhsa_ieee_mode 1
		.amdhsa_fp16_overflow 0
		.amdhsa_workgroup_processor_mode 1
		.amdhsa_memory_ordered 1
		.amdhsa_forward_progress 0
		.amdhsa_shared_vgpr_count 0
		.amdhsa_exception_fp_ieee_invalid_op 0
		.amdhsa_exception_fp_denorm_src 0
		.amdhsa_exception_fp_ieee_div_zero 0
		.amdhsa_exception_fp_ieee_overflow 0
		.amdhsa_exception_fp_ieee_underflow 0
		.amdhsa_exception_fp_ieee_inexact 0
		.amdhsa_exception_int_div_zero 0
	.end_amdhsa_kernel
	.section	.text._ZN2at6native28tensor_kernel_scan_outer_dimIsjSt10multipliesIsEEEvPT_PKS4_jjjS4_T1_,"axG",@progbits,_ZN2at6native28tensor_kernel_scan_outer_dimIsjSt10multipliesIsEEEvPT_PKS4_jjjS4_T1_,comdat
.Lfunc_end43:
	.size	_ZN2at6native28tensor_kernel_scan_outer_dimIsjSt10multipliesIsEEEvPT_PKS4_jjjS4_T1_, .Lfunc_end43-_ZN2at6native28tensor_kernel_scan_outer_dimIsjSt10multipliesIsEEEvPT_PKS4_jjjS4_T1_
                                        ; -- End function
	.section	.AMDGPU.csdata,"",@progbits
; Kernel info:
; codeLenInByte = 372
; NumSgprs: 28
; NumVgprs: 9
; ScratchSize: 0
; MemoryBound: 0
; FloatMode: 240
; IeeeMode: 1
; LDSByteSize: 0 bytes/workgroup (compile time only)
; SGPRBlocks: 3
; VGPRBlocks: 1
; NumSGPRsForWavesPerEU: 28
; NumVGPRsForWavesPerEU: 9
; Occupancy: 16
; WaveLimiterHint : 0
; COMPUTE_PGM_RSRC2:SCRATCH_EN: 0
; COMPUTE_PGM_RSRC2:USER_SGPR: 14
; COMPUTE_PGM_RSRC2:TRAP_HANDLER: 0
; COMPUTE_PGM_RSRC2:TGID_X_EN: 1
; COMPUTE_PGM_RSRC2:TGID_Y_EN: 1
; COMPUTE_PGM_RSRC2:TGID_Z_EN: 0
; COMPUTE_PGM_RSRC2:TIDIG_COMP_CNT: 0
	.section	.text._ZN2at6native28tensor_kernel_scan_outer_dimIsmSt10multipliesIsEEEvPT_PKS4_jjjS4_T1_,"axG",@progbits,_ZN2at6native28tensor_kernel_scan_outer_dimIsmSt10multipliesIsEEEvPT_PKS4_jjjS4_T1_,comdat
	.protected	_ZN2at6native28tensor_kernel_scan_outer_dimIsmSt10multipliesIsEEEvPT_PKS4_jjjS4_T1_ ; -- Begin function _ZN2at6native28tensor_kernel_scan_outer_dimIsmSt10multipliesIsEEEvPT_PKS4_jjjS4_T1_
	.globl	_ZN2at6native28tensor_kernel_scan_outer_dimIsmSt10multipliesIsEEEvPT_PKS4_jjjS4_T1_
	.p2align	8
	.type	_ZN2at6native28tensor_kernel_scan_outer_dimIsmSt10multipliesIsEEEvPT_PKS4_jjjS4_T1_,@function
_ZN2at6native28tensor_kernel_scan_outer_dimIsmSt10multipliesIsEEEvPT_PKS4_jjjS4_T1_: ; @_ZN2at6native28tensor_kernel_scan_outer_dimIsmSt10multipliesIsEEEvPT_PKS4_jjjS4_T1_
; %bb.0:
	s_load_b128 s[4:7], s[0:1], 0x10
	s_waitcnt lgkmcnt(0)
	s_cmp_ge_u32 s14, s4
	s_cbranch_scc1 .LBB44_9
; %bb.1:
	s_clause 0x2
	s_load_b32 s12, s[0:1], 0x2c
	s_load_b128 s[8:11], s[0:1], 0x0
	s_load_b32 s18, s[0:1], 0x20
	s_add_u32 s2, s0, 32
	s_addc_u32 s3, s1, 0
	v_mov_b32_e32 v3, 0
	s_mov_b32 s17, 0
	s_mul_hi_u32 s13, s6, s5
	s_mov_b32 s16, s5
	s_waitcnt lgkmcnt(0)
	s_and_b32 s1, s12, 0xffff
	s_cmp_lg_u32 s6, 0
	v_mad_u64_u32 v[1:2], null, s15, s1, v[0:1]
	s_mul_i32 s12, s6, s5
	s_cselect_b32 s15, -1, 0
	s_lshl_b64 s[12:13], s[12:13], 1
	s_lshl_b64 s[16:17], s[16:17], 1
	s_delay_alu instid0(VALU_DEP_1)
	v_cmp_gt_u32_e64 s0, s5, v1
	s_branch .LBB44_3
.LBB44_2:                               ;   in Loop: Header=BB44_3 Depth=1
	s_set_inst_prefetch_distance 0x2
	s_or_b32 exec_lo, exec_lo, s19
	s_add_i32 s14, s14, s18
	s_delay_alu instid0(SALU_CYCLE_1)
	s_cmp_ge_u32 s14, s4
	s_cbranch_scc1 .LBB44_9
.LBB44_3:                               ; =>This Loop Header: Depth=1
                                        ;     Child Loop BB44_6 Depth 2
                                        ;       Child Loop BB44_8 Depth 3
	s_delay_alu instid0(VALU_DEP_1)
	s_and_saveexec_b32 s19, s0
	s_cbranch_execz .LBB44_2
; %bb.4:                                ;   in Loop: Header=BB44_3 Depth=1
	s_load_b32 s22, s[2:3], 0x4
	v_mov_b32_e32 v2, v1
	s_mul_i32 s21, s13, s14
	s_mul_hi_u32 s23, s12, s14
	s_mul_i32 s20, s12, s14
	s_add_i32 s21, s23, s21
	s_mov_b32 s23, 0
	s_waitcnt lgkmcnt(0)
	s_mul_i32 s22, s22, s1
	s_set_inst_prefetch_distance 0x1
	s_branch .LBB44_6
	.p2align	6
.LBB44_5:                               ;   in Loop: Header=BB44_6 Depth=2
	v_add_nc_u32_e32 v2, s22, v2
	s_delay_alu instid0(VALU_DEP_1) | instskip(SKIP_1) | instid1(SALU_CYCLE_1)
	v_cmp_le_u32_e32 vcc_lo, s5, v2
	s_or_b32 s23, vcc_lo, s23
	s_and_not1_b32 exec_lo, exec_lo, s23
	s_cbranch_execz .LBB44_2
.LBB44_6:                               ;   Parent Loop BB44_3 Depth=1
                                        ; =>  This Loop Header: Depth=2
                                        ;       Child Loop BB44_8 Depth 3
	s_and_not1_b32 vcc_lo, exec_lo, s15
	s_cbranch_vccnz .LBB44_5
; %bb.7:                                ;   in Loop: Header=BB44_6 Depth=2
	v_lshlrev_b64 v[4:5], 1, v[2:3]
	s_mov_b32 s24, s6
	s_delay_alu instid0(VALU_DEP_1) | instskip(NEXT) | instid1(VALU_DEP_2)
	v_add_co_u32 v0, vcc_lo, s20, v4
	v_add_co_ci_u32_e32 v4, vcc_lo, s21, v5, vcc_lo
	v_mov_b32_e32 v5, s7
	.p2align	6
.LBB44_8:                               ;   Parent Loop BB44_3 Depth=1
                                        ;     Parent Loop BB44_6 Depth=2
                                        ; =>    This Inner Loop Header: Depth=3
	s_delay_alu instid0(VALU_DEP_3) | instskip(NEXT) | instid1(VALU_DEP_3)
	v_add_co_u32 v6, vcc_lo, s10, v0
	v_add_co_ci_u32_e32 v7, vcc_lo, s11, v4, vcc_lo
	s_add_i32 s24, s24, -1
	s_delay_alu instid0(SALU_CYCLE_1)
	s_cmp_eq_u32 s24, 0
	global_load_u16 v8, v[6:7], off
	v_add_co_u32 v6, vcc_lo, s8, v0
	v_add_co_ci_u32_e32 v7, vcc_lo, s9, v4, vcc_lo
	v_add_co_u32 v0, vcc_lo, v0, s16
	v_add_co_ci_u32_e32 v4, vcc_lo, s17, v4, vcc_lo
	s_waitcnt vmcnt(0)
	v_mul_lo_u16 v5, v8, v5
	global_store_b16 v[6:7], v5, off
	s_cbranch_scc0 .LBB44_8
	s_branch .LBB44_5
.LBB44_9:
	s_nop 0
	s_sendmsg sendmsg(MSG_DEALLOC_VGPRS)
	s_endpgm
	.section	.rodata,"a",@progbits
	.p2align	6, 0x0
	.amdhsa_kernel _ZN2at6native28tensor_kernel_scan_outer_dimIsmSt10multipliesIsEEEvPT_PKS4_jjjS4_T1_
		.amdhsa_group_segment_fixed_size 0
		.amdhsa_private_segment_fixed_size 0
		.amdhsa_kernarg_size 288
		.amdhsa_user_sgpr_count 14
		.amdhsa_user_sgpr_dispatch_ptr 0
		.amdhsa_user_sgpr_queue_ptr 0
		.amdhsa_user_sgpr_kernarg_segment_ptr 1
		.amdhsa_user_sgpr_dispatch_id 0
		.amdhsa_user_sgpr_private_segment_size 0
		.amdhsa_wavefront_size32 1
		.amdhsa_uses_dynamic_stack 0
		.amdhsa_enable_private_segment 0
		.amdhsa_system_sgpr_workgroup_id_x 1
		.amdhsa_system_sgpr_workgroup_id_y 1
		.amdhsa_system_sgpr_workgroup_id_z 0
		.amdhsa_system_sgpr_workgroup_info 0
		.amdhsa_system_vgpr_workitem_id 0
		.amdhsa_next_free_vgpr 9
		.amdhsa_next_free_sgpr 25
		.amdhsa_reserve_vcc 1
		.amdhsa_float_round_mode_32 0
		.amdhsa_float_round_mode_16_64 0
		.amdhsa_float_denorm_mode_32 3
		.amdhsa_float_denorm_mode_16_64 3
		.amdhsa_dx10_clamp 1
		.amdhsa_ieee_mode 1
		.amdhsa_fp16_overflow 0
		.amdhsa_workgroup_processor_mode 1
		.amdhsa_memory_ordered 1
		.amdhsa_forward_progress 0
		.amdhsa_shared_vgpr_count 0
		.amdhsa_exception_fp_ieee_invalid_op 0
		.amdhsa_exception_fp_denorm_src 0
		.amdhsa_exception_fp_ieee_div_zero 0
		.amdhsa_exception_fp_ieee_overflow 0
		.amdhsa_exception_fp_ieee_underflow 0
		.amdhsa_exception_fp_ieee_inexact 0
		.amdhsa_exception_int_div_zero 0
	.end_amdhsa_kernel
	.section	.text._ZN2at6native28tensor_kernel_scan_outer_dimIsmSt10multipliesIsEEEvPT_PKS4_jjjS4_T1_,"axG",@progbits,_ZN2at6native28tensor_kernel_scan_outer_dimIsmSt10multipliesIsEEEvPT_PKS4_jjjS4_T1_,comdat
.Lfunc_end44:
	.size	_ZN2at6native28tensor_kernel_scan_outer_dimIsmSt10multipliesIsEEEvPT_PKS4_jjjS4_T1_, .Lfunc_end44-_ZN2at6native28tensor_kernel_scan_outer_dimIsmSt10multipliesIsEEEvPT_PKS4_jjjS4_T1_
                                        ; -- End function
	.section	.AMDGPU.csdata,"",@progbits
; Kernel info:
; codeLenInByte = 376
; NumSgprs: 27
; NumVgprs: 9
; ScratchSize: 0
; MemoryBound: 0
; FloatMode: 240
; IeeeMode: 1
; LDSByteSize: 0 bytes/workgroup (compile time only)
; SGPRBlocks: 3
; VGPRBlocks: 1
; NumSGPRsForWavesPerEU: 27
; NumVGPRsForWavesPerEU: 9
; Occupancy: 16
; WaveLimiterHint : 0
; COMPUTE_PGM_RSRC2:SCRATCH_EN: 0
; COMPUTE_PGM_RSRC2:USER_SGPR: 14
; COMPUTE_PGM_RSRC2:TRAP_HANDLER: 0
; COMPUTE_PGM_RSRC2:TGID_X_EN: 1
; COMPUTE_PGM_RSRC2:TGID_Y_EN: 1
; COMPUTE_PGM_RSRC2:TGID_Z_EN: 0
; COMPUTE_PGM_RSRC2:TIDIG_COMP_CNT: 0
	.section	.text._ZN7rocprim17ROCPRIM_304000_NS6detail31init_lookback_scan_state_kernelINS1_19lookback_scan_stateIdLb1ELb1EEEEEvT_jjPNS5_10value_typeE,"axG",@progbits,_ZN7rocprim17ROCPRIM_304000_NS6detail31init_lookback_scan_state_kernelINS1_19lookback_scan_stateIdLb1ELb1EEEEEvT_jjPNS5_10value_typeE,comdat
	.protected	_ZN7rocprim17ROCPRIM_304000_NS6detail31init_lookback_scan_state_kernelINS1_19lookback_scan_stateIdLb1ELb1EEEEEvT_jjPNS5_10value_typeE ; -- Begin function _ZN7rocprim17ROCPRIM_304000_NS6detail31init_lookback_scan_state_kernelINS1_19lookback_scan_stateIdLb1ELb1EEEEEvT_jjPNS5_10value_typeE
	.globl	_ZN7rocprim17ROCPRIM_304000_NS6detail31init_lookback_scan_state_kernelINS1_19lookback_scan_stateIdLb1ELb1EEEEEvT_jjPNS5_10value_typeE
	.p2align	8
	.type	_ZN7rocprim17ROCPRIM_304000_NS6detail31init_lookback_scan_state_kernelINS1_19lookback_scan_stateIdLb1ELb1EEEEEvT_jjPNS5_10value_typeE,@function
_ZN7rocprim17ROCPRIM_304000_NS6detail31init_lookback_scan_state_kernelINS1_19lookback_scan_stateIdLb1ELb1EEEEEvT_jjPNS5_10value_typeE: ; @_ZN7rocprim17ROCPRIM_304000_NS6detail31init_lookback_scan_state_kernelINS1_19lookback_scan_stateIdLb1ELb1EEEEEvT_jjPNS5_10value_typeE
; %bb.0:
	s_clause 0x2
	s_load_b32 s6, s[0:1], 0x24
	s_load_b64 s[4:5], s[0:1], 0x10
	s_load_b128 s[0:3], s[0:1], 0x0
	s_waitcnt lgkmcnt(0)
	s_and_b32 s6, s6, 0xffff
	s_cmp_eq_u64 s[4:5], 0
	v_mad_u64_u32 v[1:2], null, s15, s6, v[0:1]
	s_cbranch_scc1 .LBB45_10
; %bb.1:
	s_cmp_lt_u32 s3, s2
	s_mov_b32 s7, 0
	s_cselect_b32 s6, s3, 0
	s_mov_b32 s8, exec_lo
	s_delay_alu instid0(VALU_DEP_1)
	v_cmpx_eq_u32_e64 s6, v1
	s_cbranch_execz .LBB45_9
; %bb.2:
	s_add_i32 s6, s3, 32
	s_mov_b32 s3, exec_lo
	s_lshl_b64 s[6:7], s[6:7], 4
	v_mov_b32_e32 v6, 0
	s_add_u32 s6, s0, s6
	s_addc_u32 s7, s1, s7
	s_delay_alu instid0(SALU_CYCLE_1) | instskip(SKIP_2) | instid1(VALU_DEP_1)
	v_dual_mov_b32 v2, s6 :: v_dual_mov_b32 v3, s7
	;;#ASMSTART
	global_load_dwordx4 v[2:5], v[2:3] off glc	
s_waitcnt vmcnt(0)
	;;#ASMEND
	v_and_b32_e32 v5, 0xff, v4
	v_cmpx_eq_u64_e32 0, v[5:6]
	s_cbranch_execz .LBB45_8
; %bb.3:
	v_dual_mov_b32 v8, s7 :: v_dual_mov_b32 v7, s6
	s_mov_b32 s7, 1
	s_mov_b32 s6, 0
	.p2align	6
.LBB45_4:                               ; =>This Loop Header: Depth=1
                                        ;     Child Loop BB45_5 Depth 2
	s_max_u32 s9, s7, 1
.LBB45_5:                               ;   Parent Loop BB45_4 Depth=1
                                        ; =>  This Inner Loop Header: Depth=2
	s_delay_alu instid0(SALU_CYCLE_1)
	s_add_i32 s9, s9, -1
	s_sleep 1
	s_cmp_eq_u32 s9, 0
	s_cbranch_scc0 .LBB45_5
; %bb.6:                                ;   in Loop: Header=BB45_4 Depth=1
	;;#ASMSTART
	global_load_dwordx4 v[2:5], v[7:8] off glc	
s_waitcnt vmcnt(0)
	;;#ASMEND
	v_and_b32_e32 v5, 0xff, v4
	s_cmp_lt_u32 s7, 32
	s_cselect_b32 s9, -1, 0
	s_delay_alu instid0(SALU_CYCLE_1) | instskip(NEXT) | instid1(VALU_DEP_1)
	s_cmp_lg_u32 s9, 0
	v_cmp_ne_u64_e32 vcc_lo, 0, v[5:6]
	s_addc_u32 s7, s7, 0
	s_or_b32 s6, vcc_lo, s6
	s_delay_alu instid0(SALU_CYCLE_1)
	s_and_not1_b32 exec_lo, exec_lo, s6
	s_cbranch_execnz .LBB45_4
; %bb.7:
	s_or_b32 exec_lo, exec_lo, s6
.LBB45_8:
	s_delay_alu instid0(SALU_CYCLE_1)
	s_or_b32 exec_lo, exec_lo, s3
	v_mov_b32_e32 v0, 0
	global_store_b64 v0, v[2:3], s[4:5]
.LBB45_9:
	s_or_b32 exec_lo, exec_lo, s8
.LBB45_10:
	s_delay_alu instid0(VALU_DEP_1)
	v_cmp_gt_u32_e32 vcc_lo, s2, v1
	s_and_saveexec_b32 s2, vcc_lo
	s_cbranch_execz .LBB45_12
; %bb.11:
	v_dual_mov_b32 v3, 0 :: v_dual_add_nc_u32 v2, 32, v1
	s_delay_alu instid0(VALU_DEP_1) | instskip(SKIP_2) | instid1(VALU_DEP_3)
	v_lshlrev_b64 v[5:6], 4, v[2:3]
	v_mov_b32_e32 v2, v3
	v_mov_b32_e32 v4, v3
	v_add_co_u32 v7, vcc_lo, s0, v5
	s_delay_alu instid0(VALU_DEP_4)
	v_add_co_ci_u32_e32 v8, vcc_lo, s1, v6, vcc_lo
	v_mov_b32_e32 v5, v3
	global_store_b128 v[7:8], v[2:5], off
.LBB45_12:
	s_or_b32 exec_lo, exec_lo, s2
	s_delay_alu instid0(SALU_CYCLE_1)
	s_mov_b32 s2, exec_lo
	v_cmpx_gt_u32_e32 32, v1
	s_cbranch_execz .LBB45_14
; %bb.13:
	v_dual_mov_b32 v2, 0 :: v_dual_mov_b32 v3, 0xff
	s_delay_alu instid0(VALU_DEP_1) | instskip(SKIP_1) | instid1(VALU_DEP_2)
	v_lshlrev_b64 v[4:5], 4, v[1:2]
	v_mov_b32_e32 v1, v2
	v_add_co_u32 v6, vcc_lo, s0, v4
	s_delay_alu instid0(VALU_DEP_3)
	v_add_co_ci_u32_e32 v7, vcc_lo, s1, v5, vcc_lo
	v_mov_b32_e32 v4, v2
	global_store_b128 v[6:7], v[1:4], off
.LBB45_14:
	s_nop 0
	s_sendmsg sendmsg(MSG_DEALLOC_VGPRS)
	s_endpgm
	.section	.rodata,"a",@progbits
	.p2align	6, 0x0
	.amdhsa_kernel _ZN7rocprim17ROCPRIM_304000_NS6detail31init_lookback_scan_state_kernelINS1_19lookback_scan_stateIdLb1ELb1EEEEEvT_jjPNS5_10value_typeE
		.amdhsa_group_segment_fixed_size 0
		.amdhsa_private_segment_fixed_size 0
		.amdhsa_kernarg_size 280
		.amdhsa_user_sgpr_count 15
		.amdhsa_user_sgpr_dispatch_ptr 0
		.amdhsa_user_sgpr_queue_ptr 0
		.amdhsa_user_sgpr_kernarg_segment_ptr 1
		.amdhsa_user_sgpr_dispatch_id 0
		.amdhsa_user_sgpr_private_segment_size 0
		.amdhsa_wavefront_size32 1
		.amdhsa_uses_dynamic_stack 0
		.amdhsa_enable_private_segment 0
		.amdhsa_system_sgpr_workgroup_id_x 1
		.amdhsa_system_sgpr_workgroup_id_y 0
		.amdhsa_system_sgpr_workgroup_id_z 0
		.amdhsa_system_sgpr_workgroup_info 0
		.amdhsa_system_vgpr_workitem_id 0
		.amdhsa_next_free_vgpr 9
		.amdhsa_next_free_sgpr 16
		.amdhsa_reserve_vcc 1
		.amdhsa_float_round_mode_32 0
		.amdhsa_float_round_mode_16_64 0
		.amdhsa_float_denorm_mode_32 3
		.amdhsa_float_denorm_mode_16_64 3
		.amdhsa_dx10_clamp 1
		.amdhsa_ieee_mode 1
		.amdhsa_fp16_overflow 0
		.amdhsa_workgroup_processor_mode 1
		.amdhsa_memory_ordered 1
		.amdhsa_forward_progress 0
		.amdhsa_shared_vgpr_count 0
		.amdhsa_exception_fp_ieee_invalid_op 0
		.amdhsa_exception_fp_denorm_src 0
		.amdhsa_exception_fp_ieee_div_zero 0
		.amdhsa_exception_fp_ieee_overflow 0
		.amdhsa_exception_fp_ieee_underflow 0
		.amdhsa_exception_fp_ieee_inexact 0
		.amdhsa_exception_int_div_zero 0
	.end_amdhsa_kernel
	.section	.text._ZN7rocprim17ROCPRIM_304000_NS6detail31init_lookback_scan_state_kernelINS1_19lookback_scan_stateIdLb1ELb1EEEEEvT_jjPNS5_10value_typeE,"axG",@progbits,_ZN7rocprim17ROCPRIM_304000_NS6detail31init_lookback_scan_state_kernelINS1_19lookback_scan_stateIdLb1ELb1EEEEEvT_jjPNS5_10value_typeE,comdat
.Lfunc_end45:
	.size	_ZN7rocprim17ROCPRIM_304000_NS6detail31init_lookback_scan_state_kernelINS1_19lookback_scan_stateIdLb1ELb1EEEEEvT_jjPNS5_10value_typeE, .Lfunc_end45-_ZN7rocprim17ROCPRIM_304000_NS6detail31init_lookback_scan_state_kernelINS1_19lookback_scan_stateIdLb1ELb1EEEEEvT_jjPNS5_10value_typeE
                                        ; -- End function
	.section	.AMDGPU.csdata,"",@progbits
; Kernel info:
; codeLenInByte = 496
; NumSgprs: 18
; NumVgprs: 9
; ScratchSize: 0
; MemoryBound: 0
; FloatMode: 240
; IeeeMode: 1
; LDSByteSize: 0 bytes/workgroup (compile time only)
; SGPRBlocks: 2
; VGPRBlocks: 1
; NumSGPRsForWavesPerEU: 18
; NumVGPRsForWavesPerEU: 9
; Occupancy: 16
; WaveLimiterHint : 0
; COMPUTE_PGM_RSRC2:SCRATCH_EN: 0
; COMPUTE_PGM_RSRC2:USER_SGPR: 15
; COMPUTE_PGM_RSRC2:TRAP_HANDLER: 0
; COMPUTE_PGM_RSRC2:TGID_X_EN: 1
; COMPUTE_PGM_RSRC2:TGID_Y_EN: 0
; COMPUTE_PGM_RSRC2:TGID_Z_EN: 0
; COMPUTE_PGM_RSRC2:TIDIG_COMP_CNT: 0
	.section	.text._ZN7rocprim17ROCPRIM_304000_NS6detail31init_lookback_scan_state_kernelINS1_19lookback_scan_stateIdLb0ELb1EEEEEvT_jjPNS5_10value_typeE,"axG",@progbits,_ZN7rocprim17ROCPRIM_304000_NS6detail31init_lookback_scan_state_kernelINS1_19lookback_scan_stateIdLb0ELb1EEEEEvT_jjPNS5_10value_typeE,comdat
	.protected	_ZN7rocprim17ROCPRIM_304000_NS6detail31init_lookback_scan_state_kernelINS1_19lookback_scan_stateIdLb0ELb1EEEEEvT_jjPNS5_10value_typeE ; -- Begin function _ZN7rocprim17ROCPRIM_304000_NS6detail31init_lookback_scan_state_kernelINS1_19lookback_scan_stateIdLb0ELb1EEEEEvT_jjPNS5_10value_typeE
	.globl	_ZN7rocprim17ROCPRIM_304000_NS6detail31init_lookback_scan_state_kernelINS1_19lookback_scan_stateIdLb0ELb1EEEEEvT_jjPNS5_10value_typeE
	.p2align	8
	.type	_ZN7rocprim17ROCPRIM_304000_NS6detail31init_lookback_scan_state_kernelINS1_19lookback_scan_stateIdLb0ELb1EEEEEvT_jjPNS5_10value_typeE,@function
_ZN7rocprim17ROCPRIM_304000_NS6detail31init_lookback_scan_state_kernelINS1_19lookback_scan_stateIdLb0ELb1EEEEEvT_jjPNS5_10value_typeE: ; @_ZN7rocprim17ROCPRIM_304000_NS6detail31init_lookback_scan_state_kernelINS1_19lookback_scan_stateIdLb0ELb1EEEEEvT_jjPNS5_10value_typeE
; %bb.0:
	s_clause 0x2
	s_load_b32 s6, s[0:1], 0x24
	s_load_b64 s[4:5], s[0:1], 0x10
	s_load_b128 s[0:3], s[0:1], 0x0
	s_waitcnt lgkmcnt(0)
	s_and_b32 s6, s6, 0xffff
	s_cmp_eq_u64 s[4:5], 0
	v_mad_u64_u32 v[1:2], null, s15, s6, v[0:1]
	s_cbranch_scc1 .LBB46_8
; %bb.1:
	s_cmp_lt_u32 s3, s2
	s_mov_b32 s7, 0
	s_cselect_b32 s6, s3, 0
	s_mov_b32 s8, exec_lo
	s_delay_alu instid0(VALU_DEP_1)
	v_cmpx_eq_u32_e64 s6, v1
	s_cbranch_execz .LBB46_7
; %bb.2:
	s_add_i32 s6, s3, 32
	s_mov_b32 s3, exec_lo
	s_lshl_b64 s[6:7], s[6:7], 4
	v_mov_b32_e32 v6, 0
	s_add_u32 s6, s0, s6
	s_addc_u32 s7, s1, s7
	s_delay_alu instid0(SALU_CYCLE_1) | instskip(SKIP_2) | instid1(VALU_DEP_1)
	v_dual_mov_b32 v2, s6 :: v_dual_mov_b32 v3, s7
	;;#ASMSTART
	global_load_dwordx4 v[2:5], v[2:3] off glc	
s_waitcnt vmcnt(0)
	;;#ASMEND
	v_and_b32_e32 v5, 0xff, v4
	v_cmpx_eq_u64_e32 0, v[5:6]
	s_cbranch_execz .LBB46_6
; %bb.3:
	v_dual_mov_b32 v8, s7 :: v_dual_mov_b32 v7, s6
	s_mov_b32 s6, 0
.LBB46_4:                               ; =>This Inner Loop Header: Depth=1
	;;#ASMSTART
	global_load_dwordx4 v[2:5], v[7:8] off glc	
s_waitcnt vmcnt(0)
	;;#ASMEND
	v_and_b32_e32 v5, 0xff, v4
	s_delay_alu instid0(VALU_DEP_1) | instskip(SKIP_1) | instid1(SALU_CYCLE_1)
	v_cmp_ne_u64_e32 vcc_lo, 0, v[5:6]
	s_or_b32 s6, vcc_lo, s6
	s_and_not1_b32 exec_lo, exec_lo, s6
	s_cbranch_execnz .LBB46_4
; %bb.5:
	s_or_b32 exec_lo, exec_lo, s6
.LBB46_6:
	s_delay_alu instid0(SALU_CYCLE_1)
	s_or_b32 exec_lo, exec_lo, s3
	v_mov_b32_e32 v0, 0
	global_store_b64 v0, v[2:3], s[4:5]
.LBB46_7:
	s_or_b32 exec_lo, exec_lo, s8
.LBB46_8:
	s_delay_alu instid0(VALU_DEP_1)
	v_cmp_gt_u32_e32 vcc_lo, s2, v1
	s_and_saveexec_b32 s2, vcc_lo
	s_cbranch_execz .LBB46_10
; %bb.9:
	v_dual_mov_b32 v3, 0 :: v_dual_add_nc_u32 v2, 32, v1
	s_delay_alu instid0(VALU_DEP_1) | instskip(SKIP_2) | instid1(VALU_DEP_3)
	v_lshlrev_b64 v[5:6], 4, v[2:3]
	v_mov_b32_e32 v2, v3
	v_mov_b32_e32 v4, v3
	v_add_co_u32 v7, vcc_lo, s0, v5
	s_delay_alu instid0(VALU_DEP_4)
	v_add_co_ci_u32_e32 v8, vcc_lo, s1, v6, vcc_lo
	v_mov_b32_e32 v5, v3
	global_store_b128 v[7:8], v[2:5], off
.LBB46_10:
	s_or_b32 exec_lo, exec_lo, s2
	s_delay_alu instid0(SALU_CYCLE_1)
	s_mov_b32 s2, exec_lo
	v_cmpx_gt_u32_e32 32, v1
	s_cbranch_execz .LBB46_12
; %bb.11:
	v_dual_mov_b32 v2, 0 :: v_dual_mov_b32 v3, 0xff
	s_delay_alu instid0(VALU_DEP_1) | instskip(SKIP_1) | instid1(VALU_DEP_2)
	v_lshlrev_b64 v[4:5], 4, v[1:2]
	v_mov_b32_e32 v1, v2
	v_add_co_u32 v6, vcc_lo, s0, v4
	s_delay_alu instid0(VALU_DEP_3)
	v_add_co_ci_u32_e32 v7, vcc_lo, s1, v5, vcc_lo
	v_mov_b32_e32 v4, v2
	global_store_b128 v[6:7], v[1:4], off
.LBB46_12:
	s_nop 0
	s_sendmsg sendmsg(MSG_DEALLOC_VGPRS)
	s_endpgm
	.section	.rodata,"a",@progbits
	.p2align	6, 0x0
	.amdhsa_kernel _ZN7rocprim17ROCPRIM_304000_NS6detail31init_lookback_scan_state_kernelINS1_19lookback_scan_stateIdLb0ELb1EEEEEvT_jjPNS5_10value_typeE
		.amdhsa_group_segment_fixed_size 0
		.amdhsa_private_segment_fixed_size 0
		.amdhsa_kernarg_size 280
		.amdhsa_user_sgpr_count 15
		.amdhsa_user_sgpr_dispatch_ptr 0
		.amdhsa_user_sgpr_queue_ptr 0
		.amdhsa_user_sgpr_kernarg_segment_ptr 1
		.amdhsa_user_sgpr_dispatch_id 0
		.amdhsa_user_sgpr_private_segment_size 0
		.amdhsa_wavefront_size32 1
		.amdhsa_uses_dynamic_stack 0
		.amdhsa_enable_private_segment 0
		.amdhsa_system_sgpr_workgroup_id_x 1
		.amdhsa_system_sgpr_workgroup_id_y 0
		.amdhsa_system_sgpr_workgroup_id_z 0
		.amdhsa_system_sgpr_workgroup_info 0
		.amdhsa_system_vgpr_workitem_id 0
		.amdhsa_next_free_vgpr 9
		.amdhsa_next_free_sgpr 16
		.amdhsa_reserve_vcc 1
		.amdhsa_float_round_mode_32 0
		.amdhsa_float_round_mode_16_64 0
		.amdhsa_float_denorm_mode_32 3
		.amdhsa_float_denorm_mode_16_64 3
		.amdhsa_dx10_clamp 1
		.amdhsa_ieee_mode 1
		.amdhsa_fp16_overflow 0
		.amdhsa_workgroup_processor_mode 1
		.amdhsa_memory_ordered 1
		.amdhsa_forward_progress 0
		.amdhsa_shared_vgpr_count 0
		.amdhsa_exception_fp_ieee_invalid_op 0
		.amdhsa_exception_fp_denorm_src 0
		.amdhsa_exception_fp_ieee_div_zero 0
		.amdhsa_exception_fp_ieee_overflow 0
		.amdhsa_exception_fp_ieee_underflow 0
		.amdhsa_exception_fp_ieee_inexact 0
		.amdhsa_exception_int_div_zero 0
	.end_amdhsa_kernel
	.section	.text._ZN7rocprim17ROCPRIM_304000_NS6detail31init_lookback_scan_state_kernelINS1_19lookback_scan_stateIdLb0ELb1EEEEEvT_jjPNS5_10value_typeE,"axG",@progbits,_ZN7rocprim17ROCPRIM_304000_NS6detail31init_lookback_scan_state_kernelINS1_19lookback_scan_stateIdLb0ELb1EEEEEvT_jjPNS5_10value_typeE,comdat
.Lfunc_end46:
	.size	_ZN7rocprim17ROCPRIM_304000_NS6detail31init_lookback_scan_state_kernelINS1_19lookback_scan_stateIdLb0ELb1EEEEEvT_jjPNS5_10value_typeE, .Lfunc_end46-_ZN7rocprim17ROCPRIM_304000_NS6detail31init_lookback_scan_state_kernelINS1_19lookback_scan_stateIdLb0ELb1EEEEEvT_jjPNS5_10value_typeE
                                        ; -- End function
	.section	.AMDGPU.csdata,"",@progbits
; Kernel info:
; codeLenInByte = 448
; NumSgprs: 18
; NumVgprs: 9
; ScratchSize: 0
; MemoryBound: 0
; FloatMode: 240
; IeeeMode: 1
; LDSByteSize: 0 bytes/workgroup (compile time only)
; SGPRBlocks: 2
; VGPRBlocks: 1
; NumSGPRsForWavesPerEU: 18
; NumVGPRsForWavesPerEU: 9
; Occupancy: 16
; WaveLimiterHint : 0
; COMPUTE_PGM_RSRC2:SCRATCH_EN: 0
; COMPUTE_PGM_RSRC2:USER_SGPR: 15
; COMPUTE_PGM_RSRC2:TRAP_HANDLER: 0
; COMPUTE_PGM_RSRC2:TGID_X_EN: 1
; COMPUTE_PGM_RSRC2:TGID_Y_EN: 0
; COMPUTE_PGM_RSRC2:TGID_Z_EN: 0
; COMPUTE_PGM_RSRC2:TIDIG_COMP_CNT: 0
	.section	.text._ZN7rocprim17ROCPRIM_304000_NS6detail20lookback_scan_kernelILNS1_25lookback_scan_determinismE0ELb0ENS1_19wrapped_scan_configINS0_14default_configEdEEPKdPdSt10multipliesIdEddNS1_19lookback_scan_stateIdLb1ELb1EEEEEvT2_T3_mT5_T4_T7_jPT6_SK_bb,"axG",@progbits,_ZN7rocprim17ROCPRIM_304000_NS6detail20lookback_scan_kernelILNS1_25lookback_scan_determinismE0ELb0ENS1_19wrapped_scan_configINS0_14default_configEdEEPKdPdSt10multipliesIdEddNS1_19lookback_scan_stateIdLb1ELb1EEEEEvT2_T3_mT5_T4_T7_jPT6_SK_bb,comdat
	.protected	_ZN7rocprim17ROCPRIM_304000_NS6detail20lookback_scan_kernelILNS1_25lookback_scan_determinismE0ELb0ENS1_19wrapped_scan_configINS0_14default_configEdEEPKdPdSt10multipliesIdEddNS1_19lookback_scan_stateIdLb1ELb1EEEEEvT2_T3_mT5_T4_T7_jPT6_SK_bb ; -- Begin function _ZN7rocprim17ROCPRIM_304000_NS6detail20lookback_scan_kernelILNS1_25lookback_scan_determinismE0ELb0ENS1_19wrapped_scan_configINS0_14default_configEdEEPKdPdSt10multipliesIdEddNS1_19lookback_scan_stateIdLb1ELb1EEEEEvT2_T3_mT5_T4_T7_jPT6_SK_bb
	.globl	_ZN7rocprim17ROCPRIM_304000_NS6detail20lookback_scan_kernelILNS1_25lookback_scan_determinismE0ELb0ENS1_19wrapped_scan_configINS0_14default_configEdEEPKdPdSt10multipliesIdEddNS1_19lookback_scan_stateIdLb1ELb1EEEEEvT2_T3_mT5_T4_T7_jPT6_SK_bb
	.p2align	8
	.type	_ZN7rocprim17ROCPRIM_304000_NS6detail20lookback_scan_kernelILNS1_25lookback_scan_determinismE0ELb0ENS1_19wrapped_scan_configINS0_14default_configEdEEPKdPdSt10multipliesIdEddNS1_19lookback_scan_stateIdLb1ELb1EEEEEvT2_T3_mT5_T4_T7_jPT6_SK_bb,@function
_ZN7rocprim17ROCPRIM_304000_NS6detail20lookback_scan_kernelILNS1_25lookback_scan_determinismE0ELb0ENS1_19wrapped_scan_configINS0_14default_configEdEEPKdPdSt10multipliesIdEddNS1_19lookback_scan_stateIdLb1ELb1EEEEEvT2_T3_mT5_T4_T7_jPT6_SK_bb: ; @_ZN7rocprim17ROCPRIM_304000_NS6detail20lookback_scan_kernelILNS1_25lookback_scan_determinismE0ELb0ENS1_19wrapped_scan_configINS0_14default_configEdEEPKdPdSt10multipliesIdEddNS1_19lookback_scan_stateIdLb1ELb1EEEEEvT2_T3_mT5_T4_T7_jPT6_SK_bb
; %bb.0:
	s_endpgm
	.section	.rodata,"a",@progbits
	.p2align	6, 0x0
	.amdhsa_kernel _ZN7rocprim17ROCPRIM_304000_NS6detail20lookback_scan_kernelILNS1_25lookback_scan_determinismE0ELb0ENS1_19wrapped_scan_configINS0_14default_configEdEEPKdPdSt10multipliesIdEddNS1_19lookback_scan_stateIdLb1ELb1EEEEEvT2_T3_mT5_T4_T7_jPT6_SK_bb
		.amdhsa_group_segment_fixed_size 0
		.amdhsa_private_segment_fixed_size 0
		.amdhsa_kernarg_size 76
		.amdhsa_user_sgpr_count 15
		.amdhsa_user_sgpr_dispatch_ptr 0
		.amdhsa_user_sgpr_queue_ptr 0
		.amdhsa_user_sgpr_kernarg_segment_ptr 1
		.amdhsa_user_sgpr_dispatch_id 0
		.amdhsa_user_sgpr_private_segment_size 0
		.amdhsa_wavefront_size32 1
		.amdhsa_uses_dynamic_stack 0
		.amdhsa_enable_private_segment 0
		.amdhsa_system_sgpr_workgroup_id_x 1
		.amdhsa_system_sgpr_workgroup_id_y 0
		.amdhsa_system_sgpr_workgroup_id_z 0
		.amdhsa_system_sgpr_workgroup_info 0
		.amdhsa_system_vgpr_workitem_id 0
		.amdhsa_next_free_vgpr 1
		.amdhsa_next_free_sgpr 1
		.amdhsa_reserve_vcc 0
		.amdhsa_float_round_mode_32 0
		.amdhsa_float_round_mode_16_64 0
		.amdhsa_float_denorm_mode_32 3
		.amdhsa_float_denorm_mode_16_64 3
		.amdhsa_dx10_clamp 1
		.amdhsa_ieee_mode 1
		.amdhsa_fp16_overflow 0
		.amdhsa_workgroup_processor_mode 1
		.amdhsa_memory_ordered 1
		.amdhsa_forward_progress 0
		.amdhsa_shared_vgpr_count 0
		.amdhsa_exception_fp_ieee_invalid_op 0
		.amdhsa_exception_fp_denorm_src 0
		.amdhsa_exception_fp_ieee_div_zero 0
		.amdhsa_exception_fp_ieee_overflow 0
		.amdhsa_exception_fp_ieee_underflow 0
		.amdhsa_exception_fp_ieee_inexact 0
		.amdhsa_exception_int_div_zero 0
	.end_amdhsa_kernel
	.section	.text._ZN7rocprim17ROCPRIM_304000_NS6detail20lookback_scan_kernelILNS1_25lookback_scan_determinismE0ELb0ENS1_19wrapped_scan_configINS0_14default_configEdEEPKdPdSt10multipliesIdEddNS1_19lookback_scan_stateIdLb1ELb1EEEEEvT2_T3_mT5_T4_T7_jPT6_SK_bb,"axG",@progbits,_ZN7rocprim17ROCPRIM_304000_NS6detail20lookback_scan_kernelILNS1_25lookback_scan_determinismE0ELb0ENS1_19wrapped_scan_configINS0_14default_configEdEEPKdPdSt10multipliesIdEddNS1_19lookback_scan_stateIdLb1ELb1EEEEEvT2_T3_mT5_T4_T7_jPT6_SK_bb,comdat
.Lfunc_end47:
	.size	_ZN7rocprim17ROCPRIM_304000_NS6detail20lookback_scan_kernelILNS1_25lookback_scan_determinismE0ELb0ENS1_19wrapped_scan_configINS0_14default_configEdEEPKdPdSt10multipliesIdEddNS1_19lookback_scan_stateIdLb1ELb1EEEEEvT2_T3_mT5_T4_T7_jPT6_SK_bb, .Lfunc_end47-_ZN7rocprim17ROCPRIM_304000_NS6detail20lookback_scan_kernelILNS1_25lookback_scan_determinismE0ELb0ENS1_19wrapped_scan_configINS0_14default_configEdEEPKdPdSt10multipliesIdEddNS1_19lookback_scan_stateIdLb1ELb1EEEEEvT2_T3_mT5_T4_T7_jPT6_SK_bb
                                        ; -- End function
	.section	.AMDGPU.csdata,"",@progbits
; Kernel info:
; codeLenInByte = 4
; NumSgprs: 0
; NumVgprs: 0
; ScratchSize: 0
; MemoryBound: 0
; FloatMode: 240
; IeeeMode: 1
; LDSByteSize: 0 bytes/workgroup (compile time only)
; SGPRBlocks: 0
; VGPRBlocks: 0
; NumSGPRsForWavesPerEU: 1
; NumVGPRsForWavesPerEU: 1
; Occupancy: 16
; WaveLimiterHint : 0
; COMPUTE_PGM_RSRC2:SCRATCH_EN: 0
; COMPUTE_PGM_RSRC2:USER_SGPR: 15
; COMPUTE_PGM_RSRC2:TRAP_HANDLER: 0
; COMPUTE_PGM_RSRC2:TGID_X_EN: 1
; COMPUTE_PGM_RSRC2:TGID_Y_EN: 0
; COMPUTE_PGM_RSRC2:TGID_Z_EN: 0
; COMPUTE_PGM_RSRC2:TIDIG_COMP_CNT: 0
	.section	.text._ZN7rocprim17ROCPRIM_304000_NS6detail20lookback_scan_kernelILNS1_25lookback_scan_determinismE0ELb0ENS1_19wrapped_scan_configINS0_14default_configEdEEPKdPdSt10multipliesIdEddNS1_19lookback_scan_stateIdLb0ELb1EEEEEvT2_T3_mT5_T4_T7_jPT6_SK_bb,"axG",@progbits,_ZN7rocprim17ROCPRIM_304000_NS6detail20lookback_scan_kernelILNS1_25lookback_scan_determinismE0ELb0ENS1_19wrapped_scan_configINS0_14default_configEdEEPKdPdSt10multipliesIdEddNS1_19lookback_scan_stateIdLb0ELb1EEEEEvT2_T3_mT5_T4_T7_jPT6_SK_bb,comdat
	.protected	_ZN7rocprim17ROCPRIM_304000_NS6detail20lookback_scan_kernelILNS1_25lookback_scan_determinismE0ELb0ENS1_19wrapped_scan_configINS0_14default_configEdEEPKdPdSt10multipliesIdEddNS1_19lookback_scan_stateIdLb0ELb1EEEEEvT2_T3_mT5_T4_T7_jPT6_SK_bb ; -- Begin function _ZN7rocprim17ROCPRIM_304000_NS6detail20lookback_scan_kernelILNS1_25lookback_scan_determinismE0ELb0ENS1_19wrapped_scan_configINS0_14default_configEdEEPKdPdSt10multipliesIdEddNS1_19lookback_scan_stateIdLb0ELb1EEEEEvT2_T3_mT5_T4_T7_jPT6_SK_bb
	.globl	_ZN7rocprim17ROCPRIM_304000_NS6detail20lookback_scan_kernelILNS1_25lookback_scan_determinismE0ELb0ENS1_19wrapped_scan_configINS0_14default_configEdEEPKdPdSt10multipliesIdEddNS1_19lookback_scan_stateIdLb0ELb1EEEEEvT2_T3_mT5_T4_T7_jPT6_SK_bb
	.p2align	8
	.type	_ZN7rocprim17ROCPRIM_304000_NS6detail20lookback_scan_kernelILNS1_25lookback_scan_determinismE0ELb0ENS1_19wrapped_scan_configINS0_14default_configEdEEPKdPdSt10multipliesIdEddNS1_19lookback_scan_stateIdLb0ELb1EEEEEvT2_T3_mT5_T4_T7_jPT6_SK_bb,@function
_ZN7rocprim17ROCPRIM_304000_NS6detail20lookback_scan_kernelILNS1_25lookback_scan_determinismE0ELb0ENS1_19wrapped_scan_configINS0_14default_configEdEEPKdPdSt10multipliesIdEddNS1_19lookback_scan_stateIdLb0ELb1EEEEEvT2_T3_mT5_T4_T7_jPT6_SK_bb: ; @_ZN7rocprim17ROCPRIM_304000_NS6detail20lookback_scan_kernelILNS1_25lookback_scan_determinismE0ELb0ENS1_19wrapped_scan_configINS0_14default_configEdEEPKdPdSt10multipliesIdEddNS1_19lookback_scan_stateIdLb0ELb1EEEEEvT2_T3_mT5_T4_T7_jPT6_SK_bb
; %bb.0:
	s_clause 0x2
	s_load_b32 s10, s[0:1], 0x30
	s_load_b64 s[2:3], s[0:1], 0x10
	s_load_b128 s[4:7], s[0:1], 0x0
	s_lshl_b32 s8, s15, 12
	s_mov_b32 s9, 0
	v_lshlrev_b32_e32 v84, 3, v0
	v_lshrrev_b32_e32 v37, 2, v0
	v_or_b32_e32 v83, 0x100, v0
	v_or_b32_e32 v82, 0x200, v0
	;; [unrolled: 1-line block ×13, first 2 shown]
	s_waitcnt lgkmcnt(0)
	s_add_i32 s10, s10, -1
	v_or_b32_e32 v70, 0xe00, v0
	s_lshl_b32 s11, s10, 12
	v_or_b32_e32 v69, 0xf00, v0
	s_sub_u32 s14, s2, s11
	s_subb_u32 s16, s3, 0
	s_cmp_lg_u32 s15, s10
	s_mov_b32 s3, -1
	s_cselect_b32 s17, -1, 0
	s_lshl_b64 s[12:13], s[8:9], 3
	s_delay_alu instid0(SALU_CYCLE_1)
	s_add_u32 s4, s4, s12
	s_addc_u32 s5, s5, s13
	s_and_b32 vcc_lo, exec_lo, s17
	s_cbranch_vccz .LBB48_2
; %bb.1:
	v_add_co_u32 v27, s2, s4, v84
	s_delay_alu instid0(VALU_DEP_1)
	v_add_co_ci_u32_e64 v28, null, s5, 0, s2
	s_clause 0x1
	global_load_b64 v[1:2], v84, s[4:5]
	global_load_b64 v[3:4], v84, s[4:5] offset:2048
	v_add_co_u32 v5, vcc_lo, 0x1000, v27
	v_add_co_ci_u32_e32 v6, vcc_lo, 0, v28, vcc_lo
	v_add_co_u32 v7, vcc_lo, v27, 0x2000
	v_add_co_ci_u32_e32 v8, vcc_lo, 0, v28, vcc_lo
	;; [unrolled: 2-line block ×10, first 2 shown]
	s_clause 0xd
	global_load_b64 v[17:18], v[7:8], off offset:-4096
	global_load_b64 v[7:8], v[7:8], off
	global_load_b64 v[19:20], v[13:14], off offset:-4096
	global_load_b64 v[13:14], v[13:14], off
	global_load_b64 v[5:6], v[5:6], off offset:2048
	global_load_b64 v[9:10], v[9:10], off offset:2048
	;; [unrolled: 1-line block ×4, first 2 shown]
	global_load_b64 v[29:30], v[23:24], off offset:-4096
	global_load_b64 v[21:22], v[21:22], off offset:2048
	global_load_b64 v[23:24], v[23:24], off
	global_load_b64 v[25:26], v[25:26], off offset:2048
	global_load_b64 v[31:32], v[27:28], off
	global_load_b64 v[27:28], v[27:28], off offset:2048
	v_lshrrev_b32_e32 v34, 2, v83
	v_lshrrev_b32_e32 v35, 2, v82
	;; [unrolled: 1-line block ×4, first 2 shown]
	v_and_b32_e32 v33, 56, v37
	v_lshrrev_b32_e32 v39, 2, v79
	v_lshrrev_b32_e32 v40, 2, v78
	;; [unrolled: 1-line block ×11, first 2 shown]
	v_and_b32_e32 v34, 0x78, v34
	v_and_b32_e32 v35, 0xb8, v35
	;; [unrolled: 1-line block ×4, first 2 shown]
	v_add_nc_u32_e32 v33, v33, v84
	v_and_b32_e32 v39, 0x178, v39
	v_and_b32_e32 v40, 0x1b8, v40
	;; [unrolled: 1-line block ×11, first 2 shown]
	v_add_nc_u32_e32 v34, v34, v84
	v_add_nc_u32_e32 v35, v35, v84
	;; [unrolled: 1-line block ×4, first 2 shown]
	s_mov_b32 s3, 0
	v_add_nc_u32_e32 v39, v39, v84
	v_add_nc_u32_e32 v40, v40, v84
	;; [unrolled: 1-line block ×11, first 2 shown]
	s_waitcnt vmcnt(15)
	ds_store_b64 v33, v[1:2]
	s_waitcnt vmcnt(14)
	ds_store_b64 v34, v[3:4] offset:2048
	s_waitcnt vmcnt(13)
	ds_store_b64 v35, v[17:18] offset:4096
	;; [unrolled: 2-line block ×3, first 2 shown]
	ds_store_b64 v38, v[7:8] offset:8192
	s_waitcnt vmcnt(8)
	ds_store_b64 v39, v[9:10] offset:10240
	ds_store_b64 v40, v[19:20] offset:12288
	s_waitcnt vmcnt(7)
	ds_store_b64 v41, v[11:12] offset:14336
	;; [unrolled: 3-line block ×3, first 2 shown]
	s_waitcnt vmcnt(5)
	ds_store_b64 v44, v[29:30] offset:20480
	s_waitcnt vmcnt(4)
	ds_store_b64 v45, v[21:22] offset:22528
	;; [unrolled: 2-line block ×6, first 2 shown]
	s_waitcnt lgkmcnt(0)
	s_barrier
.LBB48_2:
	v_cmp_gt_u32_e64 s2, s14, v0
	s_and_not1_b32 vcc_lo, exec_lo, s3
	s_cbranch_vccnz .LBB48_21
; %bb.3:
	s_load_b64 s[36:37], s[4:5], 0x0
	v_add_co_u32 v35, s3, s4, v84
	s_delay_alu instid0(VALU_DEP_1)
	v_add_co_ci_u32_e64 v36, null, s5, 0, s3
	s_waitcnt lgkmcnt(0)
	s_mov_b32 s38, s36
	s_mov_b32 s39, s37
	;; [unrolled: 1-line block ×30, first 2 shown]
	v_dual_mov_b32 v1, s36 :: v_dual_mov_b32 v2, s37
	v_dual_mov_b32 v3, s38 :: v_dual_mov_b32 v4, s39
	v_dual_mov_b32 v5, s40 :: v_dual_mov_b32 v6, s41
	v_dual_mov_b32 v7, s42 :: v_dual_mov_b32 v8, s43
	v_dual_mov_b32 v9, s44 :: v_dual_mov_b32 v10, s45
	v_dual_mov_b32 v11, s46 :: v_dual_mov_b32 v12, s47
	v_dual_mov_b32 v13, s48 :: v_dual_mov_b32 v14, s49
	v_dual_mov_b32 v15, s50 :: v_dual_mov_b32 v16, s51
	v_dual_mov_b32 v17, s52 :: v_dual_mov_b32 v18, s53
	v_dual_mov_b32 v19, s54 :: v_dual_mov_b32 v20, s55
	v_dual_mov_b32 v21, s56 :: v_dual_mov_b32 v22, s57
	v_dual_mov_b32 v23, s58 :: v_dual_mov_b32 v24, s59
	v_dual_mov_b32 v25, s60 :: v_dual_mov_b32 v26, s61
	v_dual_mov_b32 v27, s62 :: v_dual_mov_b32 v28, s63
	v_dual_mov_b32 v29, s64 :: v_dual_mov_b32 v30, s65
	v_dual_mov_b32 v31, s66 :: v_dual_mov_b32 v32, s67
	v_dual_mov_b32 v33, s36 :: v_dual_mov_b32 v34, s37
	s_and_saveexec_b32 s3, s2
	s_cbranch_execnz .LBB48_189
; %bb.4:
	s_or_b32 exec_lo, exec_lo, s3
	s_delay_alu instid0(SALU_CYCLE_1)
	s_mov_b32 s2, exec_lo
	v_cmpx_gt_u32_e64 s14, v83
	s_cbranch_execnz .LBB48_190
.LBB48_5:
	s_or_b32 exec_lo, exec_lo, s2
	s_delay_alu instid0(SALU_CYCLE_1)
	s_mov_b32 s2, exec_lo
	v_cmpx_gt_u32_e64 s14, v82
	s_cbranch_execnz .LBB48_191
.LBB48_6:
	s_or_b32 exec_lo, exec_lo, s2
	s_delay_alu instid0(SALU_CYCLE_1)
	s_mov_b32 s2, exec_lo
	v_cmpx_gt_u32_e64 s14, v81
	s_cbranch_execnz .LBB48_192
.LBB48_7:
	s_or_b32 exec_lo, exec_lo, s2
	s_delay_alu instid0(SALU_CYCLE_1)
	s_mov_b32 s2, exec_lo
	v_cmpx_gt_u32_e64 s14, v80
	s_cbranch_execnz .LBB48_193
.LBB48_8:
	s_or_b32 exec_lo, exec_lo, s2
	s_delay_alu instid0(SALU_CYCLE_1)
	s_mov_b32 s2, exec_lo
	v_cmpx_gt_u32_e64 s14, v79
	s_cbranch_execnz .LBB48_194
.LBB48_9:
	s_or_b32 exec_lo, exec_lo, s2
	s_delay_alu instid0(SALU_CYCLE_1)
	s_mov_b32 s2, exec_lo
	v_cmpx_gt_u32_e64 s14, v78
	s_cbranch_execnz .LBB48_195
.LBB48_10:
	s_or_b32 exec_lo, exec_lo, s2
	s_delay_alu instid0(SALU_CYCLE_1)
	s_mov_b32 s2, exec_lo
	v_cmpx_gt_u32_e64 s14, v77
	s_cbranch_execnz .LBB48_196
.LBB48_11:
	s_or_b32 exec_lo, exec_lo, s2
	s_delay_alu instid0(SALU_CYCLE_1)
	s_mov_b32 s2, exec_lo
	v_cmpx_gt_u32_e64 s14, v76
	s_cbranch_execnz .LBB48_197
.LBB48_12:
	s_or_b32 exec_lo, exec_lo, s2
	s_delay_alu instid0(SALU_CYCLE_1)
	s_mov_b32 s2, exec_lo
	v_cmpx_gt_u32_e64 s14, v75
	s_cbranch_execnz .LBB48_198
.LBB48_13:
	s_or_b32 exec_lo, exec_lo, s2
	s_delay_alu instid0(SALU_CYCLE_1)
	s_mov_b32 s2, exec_lo
	v_cmpx_gt_u32_e64 s14, v74
	s_cbranch_execnz .LBB48_199
.LBB48_14:
	s_or_b32 exec_lo, exec_lo, s2
	s_delay_alu instid0(SALU_CYCLE_1)
	s_mov_b32 s2, exec_lo
	v_cmpx_gt_u32_e64 s14, v73
	s_cbranch_execnz .LBB48_200
.LBB48_15:
	s_or_b32 exec_lo, exec_lo, s2
	s_delay_alu instid0(SALU_CYCLE_1)
	s_mov_b32 s2, exec_lo
	v_cmpx_gt_u32_e64 s14, v72
	s_cbranch_execnz .LBB48_201
.LBB48_16:
	s_or_b32 exec_lo, exec_lo, s2
	s_delay_alu instid0(SALU_CYCLE_1)
	s_mov_b32 s2, exec_lo
	v_cmpx_gt_u32_e64 s14, v71
	s_cbranch_execnz .LBB48_202
.LBB48_17:
	s_or_b32 exec_lo, exec_lo, s2
	s_delay_alu instid0(SALU_CYCLE_1)
	s_mov_b32 s2, exec_lo
	v_cmpx_gt_u32_e64 s14, v70
	s_cbranch_execnz .LBB48_203
.LBB48_18:
	s_or_b32 exec_lo, exec_lo, s2
	s_delay_alu instid0(SALU_CYCLE_1)
	s_mov_b32 s2, exec_lo
	v_cmpx_gt_u32_e64 s14, v69
	s_cbranch_execz .LBB48_20
.LBB48_19:
	v_add_co_u32 v1, vcc_lo, 0x7000, v35
	v_add_co_ci_u32_e32 v2, vcc_lo, 0, v36, vcc_lo
	global_load_b64 v[31:32], v[1:2], off offset:2048
.LBB48_20:
	s_or_b32 exec_lo, exec_lo, s2
	v_lshrrev_b32_e32 v1, 2, v83
	v_lshrrev_b32_e32 v2, 2, v82
	;; [unrolled: 1-line block ×3, first 2 shown]
	v_and_b32_e32 v36, 56, v37
	v_lshrrev_b32_e32 v37, 2, v80
	v_and_b32_e32 v1, 0x78, v1
	v_and_b32_e32 v2, 0xf8, v2
	;; [unrolled: 1-line block ×3, first 2 shown]
	v_lshrrev_b32_e32 v38, 2, v79
	v_add_nc_u32_e32 v36, v36, v84
	v_add_nc_u32_e32 v1, v1, v84
	v_lshrrev_b32_e32 v39, 2, v78
	v_add_nc_u32_e32 v2, v2, v84
	v_lshrrev_b32_e32 v40, 2, v77
	v_add_nc_u32_e32 v35, v35, v84
	v_and_b32_e32 v37, 0x1f8, v37
	v_and_b32_e32 v38, 0x1f8, v38
	s_waitcnt vmcnt(0)
	ds_store_b64 v36, v[33:34]
	ds_store_b64 v1, v[3:4] offset:2048
	ds_store_b64 v2, v[5:6] offset:4096
	;; [unrolled: 1-line block ×3, first 2 shown]
	v_lshrrev_b32_e32 v5, 2, v76
	v_and_b32_e32 v3, 0x1f8, v39
	v_lshrrev_b32_e32 v6, 2, v75
	v_lshrrev_b32_e32 v7, 2, v74
	v_and_b32_e32 v4, 0x1f8, v40
	v_add_nc_u32_e32 v1, v37, v84
	v_add_nc_u32_e32 v2, v38, v84
	v_and_b32_e32 v5, 0x3f8, v5
	v_add_nc_u32_e32 v3, v3, v84
	v_and_b32_e32 v6, 0x3f8, v6
	v_and_b32_e32 v7, 0x3f8, v7
	v_add_nc_u32_e32 v4, v4, v84
	ds_store_b64 v1, v[9:10] offset:8192
	ds_store_b64 v2, v[11:12] offset:10240
	;; [unrolled: 1-line block ×4, first 2 shown]
	v_lshrrev_b32_e32 v4, 2, v73
	v_add_nc_u32_e32 v1, v5, v84
	v_lshrrev_b32_e32 v5, 2, v72
	v_add_nc_u32_e32 v2, v6, v84
	v_add_nc_u32_e32 v3, v7, v84
	v_lshrrev_b32_e32 v6, 2, v71
	v_lshrrev_b32_e32 v7, 2, v70
	;; [unrolled: 1-line block ×3, first 2 shown]
	v_and_b32_e32 v4, 0x3f8, v4
	v_and_b32_e32 v5, 0x3f8, v5
	;; [unrolled: 1-line block ×5, first 2 shown]
	v_add_nc_u32_e32 v4, v4, v84
	v_add_nc_u32_e32 v5, v5, v84
	v_add_nc_u32_e32 v6, v6, v84
	v_add_nc_u32_e32 v7, v7, v84
	v_add_nc_u32_e32 v8, v8, v84
	ds_store_b64 v1, v[17:18] offset:16384
	ds_store_b64 v2, v[19:20] offset:18432
	;; [unrolled: 1-line block ×8, first 2 shown]
	s_waitcnt lgkmcnt(0)
	s_barrier
.LBB48_21:
	v_lshlrev_b32_e32 v1, 4, v0
	v_lshrrev_b32_e32 v85, 1, v0
	buffer_gl0_inv
	s_load_b64 s[4:5], s[0:1], 0x28
	v_mbcnt_lo_u32_b32 v86, -1, 0
	s_cmp_lg_u32 s15, 0
	v_add_lshl_u32 v5, v85, v1, 3
	ds_load_2addr_b64 v[1:4], v5 offset1:1
	ds_load_2addr_b64 v[37:40], v5 offset0:2 offset1:3
	ds_load_2addr_b64 v[41:44], v5 offset0:4 offset1:5
	;; [unrolled: 1-line block ×7, first 2 shown]
	s_waitcnt lgkmcnt(0)
	s_barrier
	buffer_gl0_inv
	s_cbranch_scc0 .LBB48_83
; %bb.22:
	v_mul_f64 v[5:6], v[1:2], v[3:4]
	v_and_b32_e32 v9, 15, v86
	s_mov_b32 s2, exec_lo
	s_delay_alu instid0(VALU_DEP_2) | instskip(NEXT) | instid1(VALU_DEP_1)
	v_mul_f64 v[5:6], v[37:38], v[5:6]
	v_mul_f64 v[5:6], v[39:40], v[5:6]
	s_delay_alu instid0(VALU_DEP_1) | instskip(NEXT) | instid1(VALU_DEP_1)
	v_mul_f64 v[5:6], v[41:42], v[5:6]
	v_mul_f64 v[5:6], v[43:44], v[5:6]
	s_delay_alu instid0(VALU_DEP_1) | instskip(NEXT) | instid1(VALU_DEP_1)
	;; [unrolled: 3-line block ×6, first 2 shown]
	v_mul_f64 v[5:6], v[61:62], v[5:6]
	v_mul_f64 v[5:6], v[63:64], v[5:6]
	s_delay_alu instid0(VALU_DEP_1) | instskip(NEXT) | instid1(VALU_DEP_2)
	v_mov_b32_dpp v7, v5 row_shr:1 row_mask:0xf bank_mask:0xf
	v_mov_b32_dpp v8, v6 row_shr:1 row_mask:0xf bank_mask:0xf
	v_cmpx_ne_u32_e32 0, v9
; %bb.23:
	s_delay_alu instid0(VALU_DEP_2)
	v_mul_f64 v[5:6], v[5:6], v[7:8]
; %bb.24:
	s_or_b32 exec_lo, exec_lo, s2
	s_delay_alu instid0(VALU_DEP_1) | instskip(NEXT) | instid1(VALU_DEP_2)
	v_mov_b32_dpp v7, v5 row_shr:2 row_mask:0xf bank_mask:0xf
	v_mov_b32_dpp v8, v6 row_shr:2 row_mask:0xf bank_mask:0xf
	s_mov_b32 s2, exec_lo
	v_cmpx_lt_u32_e32 1, v9
; %bb.25:
	s_delay_alu instid0(VALU_DEP_2)
	v_mul_f64 v[5:6], v[5:6], v[7:8]
; %bb.26:
	s_or_b32 exec_lo, exec_lo, s2
	s_delay_alu instid0(VALU_DEP_1) | instskip(NEXT) | instid1(VALU_DEP_2)
	v_mov_b32_dpp v7, v5 row_shr:4 row_mask:0xf bank_mask:0xf
	v_mov_b32_dpp v8, v6 row_shr:4 row_mask:0xf bank_mask:0xf
	s_mov_b32 s2, exec_lo
	v_cmpx_lt_u32_e32 3, v9
	;; [unrolled: 10-line block ×3, first 2 shown]
; %bb.29:
	s_delay_alu instid0(VALU_DEP_2)
	v_mul_f64 v[5:6], v[5:6], v[7:8]
; %bb.30:
	s_or_b32 exec_lo, exec_lo, s2
	ds_swizzle_b32 v7, v5 offset:swizzle(BROADCAST,32,15)
	ds_swizzle_b32 v8, v6 offset:swizzle(BROADCAST,32,15)
	v_and_b32_e32 v9, 16, v86
	s_mov_b32 s2, exec_lo
	s_delay_alu instid0(VALU_DEP_1)
	v_cmpx_ne_u32_e32 0, v9
	s_cbranch_execz .LBB48_32
; %bb.31:
	s_waitcnt lgkmcnt(0)
	v_mul_f64 v[5:6], v[5:6], v[7:8]
.LBB48_32:
	s_or_b32 exec_lo, exec_lo, s2
	s_waitcnt lgkmcnt(1)
	v_or_b32_e32 v7, 31, v0
	v_lshrrev_b32_e32 v13, 5, v0
	s_mov_b32 s2, exec_lo
	s_delay_alu instid0(VALU_DEP_2)
	v_cmpx_eq_u32_e64 v7, v0
	s_cbranch_execz .LBB48_34
; %bb.33:
	s_delay_alu instid0(VALU_DEP_2)
	v_lshlrev_b32_e32 v7, 3, v13
	ds_store_b64 v7, v[5:6]
.LBB48_34:
	s_or_b32 exec_lo, exec_lo, s2
	s_delay_alu instid0(SALU_CYCLE_1)
	s_mov_b32 s2, exec_lo
	s_waitcnt lgkmcnt(0)
	s_barrier
	buffer_gl0_inv
	v_cmpx_gt_u32_e32 8, v0
	s_cbranch_execz .LBB48_42
; %bb.35:
	ds_load_b64 v[7:8], v84
	v_and_b32_e32 v11, 7, v86
	s_mov_b32 s3, exec_lo
	s_waitcnt lgkmcnt(0)
	v_mov_b32_dpp v9, v7 row_shr:1 row_mask:0xf bank_mask:0xf
	v_mov_b32_dpp v10, v8 row_shr:1 row_mask:0xf bank_mask:0xf
	v_cmpx_ne_u32_e32 0, v11
; %bb.36:
	s_delay_alu instid0(VALU_DEP_2)
	v_mul_f64 v[7:8], v[7:8], v[9:10]
; %bb.37:
	s_or_b32 exec_lo, exec_lo, s3
	s_delay_alu instid0(VALU_DEP_1) | instskip(NEXT) | instid1(VALU_DEP_2)
	v_mov_b32_dpp v9, v7 row_shr:2 row_mask:0xf bank_mask:0xf
	v_mov_b32_dpp v10, v8 row_shr:2 row_mask:0xf bank_mask:0xf
	s_mov_b32 s3, exec_lo
	v_cmpx_lt_u32_e32 1, v11
; %bb.38:
	s_delay_alu instid0(VALU_DEP_2)
	v_mul_f64 v[7:8], v[7:8], v[9:10]
; %bb.39:
	s_or_b32 exec_lo, exec_lo, s3
	s_delay_alu instid0(VALU_DEP_1) | instskip(NEXT) | instid1(VALU_DEP_2)
	v_mov_b32_dpp v9, v7 row_shr:4 row_mask:0xf bank_mask:0xf
	v_mov_b32_dpp v10, v8 row_shr:4 row_mask:0xf bank_mask:0xf
	s_mov_b32 s3, exec_lo
	v_cmpx_lt_u32_e32 3, v11
; %bb.40:
	s_delay_alu instid0(VALU_DEP_2)
	v_mul_f64 v[7:8], v[7:8], v[9:10]
; %bb.41:
	s_or_b32 exec_lo, exec_lo, s3
	ds_store_b64 v84, v[7:8]
.LBB48_42:
	s_or_b32 exec_lo, exec_lo, s2
	v_cmp_gt_u32_e32 vcc_lo, 32, v0
	s_mov_b32 s3, exec_lo
	s_waitcnt lgkmcnt(0)
	s_barrier
	buffer_gl0_inv
                                        ; implicit-def: $vgpr11_vgpr12
	v_cmpx_lt_u32_e32 31, v0
	s_cbranch_execz .LBB48_44
; %bb.43:
	v_lshl_add_u32 v7, v13, 3, -8
	ds_load_b64 v[11:12], v7
	s_waitcnt lgkmcnt(0)
	v_mul_f64 v[5:6], v[5:6], v[11:12]
.LBB48_44:
	s_or_b32 exec_lo, exec_lo, s3
	v_add_nc_u32_e32 v7, -1, v86
	s_delay_alu instid0(VALU_DEP_1) | instskip(NEXT) | instid1(VALU_DEP_1)
	v_cmp_gt_i32_e64 s2, 0, v7
	v_cndmask_b32_e64 v7, v7, v86, s2
	v_cmp_eq_u32_e64 s2, 0, v86
	s_delay_alu instid0(VALU_DEP_2)
	v_lshlrev_b32_e32 v7, 2, v7
	ds_bpermute_b32 v19, v7, v5
	ds_bpermute_b32 v20, v7, v6
	s_and_saveexec_b32 s3, vcc_lo
	s_cbranch_execz .LBB48_82
; %bb.45:
	v_mov_b32_e32 v8, 0
	ds_load_b64 v[5:6], v8 offset:56
	s_and_saveexec_b32 s8, s2
	s_cbranch_execz .LBB48_47
; %bb.46:
	s_add_i32 s10, s15, 32
	s_mov_b32 s11, 0
	s_delay_alu instid0(SALU_CYCLE_1) | instskip(NEXT) | instid1(SALU_CYCLE_1)
	s_lshl_b64 s[10:11], s[10:11], 4
	s_add_u32 s10, s4, s10
	s_addc_u32 s11, s5, s11
	v_mov_b32_e32 v9, s10
	v_dual_mov_b32 v7, 1 :: v_dual_mov_b32 v10, s11
	s_waitcnt lgkmcnt(0)
	;;#ASMSTART
	global_store_dwordx4 v[9:10], v[5:8] off	
s_waitcnt vmcnt(0)
	;;#ASMEND
.LBB48_47:
	s_or_b32 exec_lo, exec_lo, s8
	v_xad_u32 v13, v86, -1, s15
	s_mov_b32 s8, exec_lo
	s_delay_alu instid0(VALU_DEP_1) | instskip(NEXT) | instid1(VALU_DEP_1)
	v_add_nc_u32_e32 v7, 32, v13
	v_lshlrev_b64 v[7:8], 4, v[7:8]
	s_delay_alu instid0(VALU_DEP_1) | instskip(NEXT) | instid1(VALU_DEP_2)
	v_add_co_u32 v14, vcc_lo, s4, v7
	v_add_co_ci_u32_e32 v15, vcc_lo, s5, v8, vcc_lo
	;;#ASMSTART
	global_load_dwordx4 v[7:10], v[14:15] off glc	
s_waitcnt vmcnt(0)
	;;#ASMEND
	v_and_b32_e32 v10, 0xff, v9
	s_delay_alu instid0(VALU_DEP_1)
	v_cmpx_eq_u16_e32 0, v10
	s_cbranch_execz .LBB48_50
.LBB48_48:                              ; =>This Inner Loop Header: Depth=1
	;;#ASMSTART
	global_load_dwordx4 v[7:10], v[14:15] off glc	
s_waitcnt vmcnt(0)
	;;#ASMEND
	v_and_b32_e32 v10, 0xff, v9
	s_delay_alu instid0(VALU_DEP_1) | instskip(SKIP_1) | instid1(SALU_CYCLE_1)
	v_cmp_ne_u16_e32 vcc_lo, 0, v10
	s_or_b32 s9, vcc_lo, s9
	s_and_not1_b32 exec_lo, exec_lo, s9
	s_cbranch_execnz .LBB48_48
; %bb.49:
	s_or_b32 exec_lo, exec_lo, s9
.LBB48_50:
	s_delay_alu instid0(SALU_CYCLE_1)
	s_or_b32 exec_lo, exec_lo, s8
	v_cmp_ne_u32_e32 vcc_lo, 31, v86
	v_and_b32_e32 v14, 0xff, v9
	v_lshlrev_b32_e64 v22, v86, -1
	v_add_nc_u32_e32 v23, 1, v86
	s_mov_b32 s8, exec_lo
	v_add_co_ci_u32_e32 v10, vcc_lo, 0, v86, vcc_lo
	v_cmp_eq_u16_e32 vcc_lo, 2, v14
	s_delay_alu instid0(VALU_DEP_2) | instskip(SKIP_4) | instid1(VALU_DEP_1)
	v_lshlrev_b32_e32 v21, 2, v10
	v_and_or_b32 v10, vcc_lo, v22, 0x80000000
	ds_bpermute_b32 v14, v21, v7
	ds_bpermute_b32 v15, v21, v8
	v_ctz_i32_b32_e32 v10, v10
	v_cmpx_le_u32_e64 v23, v10
	s_cbranch_execz .LBB48_52
; %bb.51:
	s_waitcnt lgkmcnt(0)
	v_mul_f64 v[7:8], v[7:8], v[14:15]
.LBB48_52:
	s_or_b32 exec_lo, exec_lo, s8
	v_cmp_gt_u32_e32 vcc_lo, 30, v86
	v_add_nc_u32_e32 v25, 2, v86
	s_mov_b32 s8, exec_lo
	s_waitcnt lgkmcnt(1)
	v_cndmask_b32_e64 v14, 0, 1, vcc_lo
	s_delay_alu instid0(VALU_DEP_1) | instskip(NEXT) | instid1(VALU_DEP_1)
	v_lshlrev_b32_e32 v14, 1, v14
	v_add_lshl_u32 v24, v14, v86, 2
	ds_bpermute_b32 v14, v24, v7
	s_waitcnt lgkmcnt(1)
	ds_bpermute_b32 v15, v24, v8
	v_cmpx_le_u32_e64 v25, v10
	s_cbranch_execz .LBB48_54
; %bb.53:
	s_waitcnt lgkmcnt(0)
	v_mul_f64 v[7:8], v[7:8], v[14:15]
.LBB48_54:
	s_or_b32 exec_lo, exec_lo, s8
	v_cmp_gt_u32_e32 vcc_lo, 28, v86
	v_add_nc_u32_e32 v27, 4, v86
	s_mov_b32 s8, exec_lo
	s_waitcnt lgkmcnt(1)
	v_cndmask_b32_e64 v14, 0, 1, vcc_lo
	s_delay_alu instid0(VALU_DEP_1) | instskip(NEXT) | instid1(VALU_DEP_1)
	v_lshlrev_b32_e32 v14, 2, v14
	v_add_lshl_u32 v26, v14, v86, 2
	ds_bpermute_b32 v14, v26, v7
	s_waitcnt lgkmcnt(1)
	ds_bpermute_b32 v15, v26, v8
	;; [unrolled: 18-line block ×4, first 2 shown]
	v_cmpx_le_u32_e64 v31, v10
	s_cbranch_execz .LBB48_60
; %bb.59:
	s_waitcnt lgkmcnt(0)
	v_mul_f64 v[7:8], v[7:8], v[14:15]
.LBB48_60:
	s_or_b32 exec_lo, exec_lo, s8
	s_waitcnt lgkmcnt(1)
	v_mov_b32_e32 v14, 0
	s_branch .LBB48_62
.LBB48_61:                              ;   in Loop: Header=BB48_62 Depth=1
	s_or_b32 exec_lo, exec_lo, s8
	s_delay_alu instid0(VALU_DEP_1)
	v_mul_f64 v[7:8], v[15:16], v[7:8]
	v_subrev_nc_u32_e32 v13, 32, v13
.LBB48_62:                              ; =>This Loop Header: Depth=1
                                        ;     Child Loop BB48_65 Depth 2
	s_waitcnt lgkmcnt(0)
	s_delay_alu instid0(VALU_DEP_2) | instskip(NEXT) | instid1(VALU_DEP_3)
	v_dual_mov_b32 v16, v8 :: v_dual_and_b32 v9, 0xff, v9
	v_mov_b32_e32 v15, v7
	s_delay_alu instid0(VALU_DEP_2) | instskip(SKIP_2) | instid1(VALU_DEP_1)
	v_cmp_ne_u16_e32 vcc_lo, 2, v9
	v_cndmask_b32_e64 v9, 0, 1, vcc_lo
	;;#ASMSTART
	;;#ASMEND
	v_cmp_ne_u32_e32 vcc_lo, 0, v9
	s_cmp_lg_u32 vcc_lo, exec_lo
	s_cbranch_scc1 .LBB48_77
; %bb.63:                               ;   in Loop: Header=BB48_62 Depth=1
	v_lshlrev_b64 v[7:8], 4, v[13:14]
	s_mov_b32 s8, exec_lo
	s_delay_alu instid0(VALU_DEP_1) | instskip(NEXT) | instid1(VALU_DEP_2)
	v_add_co_u32 v17, vcc_lo, s4, v7
	v_add_co_ci_u32_e32 v18, vcc_lo, s5, v8, vcc_lo
	;;#ASMSTART
	global_load_dwordx4 v[7:10], v[17:18] off glc	
s_waitcnt vmcnt(0)
	;;#ASMEND
	v_and_b32_e32 v10, 0xff, v9
	s_delay_alu instid0(VALU_DEP_1)
	v_cmpx_eq_u16_e32 0, v10
	s_cbranch_execz .LBB48_67
; %bb.64:                               ;   in Loop: Header=BB48_62 Depth=1
	s_mov_b32 s9, 0
.LBB48_65:                              ;   Parent Loop BB48_62 Depth=1
                                        ; =>  This Inner Loop Header: Depth=2
	;;#ASMSTART
	global_load_dwordx4 v[7:10], v[17:18] off glc	
s_waitcnt vmcnt(0)
	;;#ASMEND
	v_and_b32_e32 v10, 0xff, v9
	s_delay_alu instid0(VALU_DEP_1) | instskip(SKIP_1) | instid1(SALU_CYCLE_1)
	v_cmp_ne_u16_e32 vcc_lo, 0, v10
	s_or_b32 s9, vcc_lo, s9
	s_and_not1_b32 exec_lo, exec_lo, s9
	s_cbranch_execnz .LBB48_65
; %bb.66:                               ;   in Loop: Header=BB48_62 Depth=1
	s_or_b32 exec_lo, exec_lo, s9
.LBB48_67:                              ;   in Loop: Header=BB48_62 Depth=1
	s_delay_alu instid0(SALU_CYCLE_1)
	s_or_b32 exec_lo, exec_lo, s8
	v_and_b32_e32 v10, 0xff, v9
	ds_bpermute_b32 v17, v21, v7
	ds_bpermute_b32 v18, v21, v8
	s_mov_b32 s8, exec_lo
	v_cmp_eq_u16_e32 vcc_lo, 2, v10
	v_and_or_b32 v10, vcc_lo, v22, 0x80000000
	s_delay_alu instid0(VALU_DEP_1) | instskip(NEXT) | instid1(VALU_DEP_1)
	v_ctz_i32_b32_e32 v10, v10
	v_cmpx_le_u32_e64 v23, v10
	s_cbranch_execz .LBB48_69
; %bb.68:                               ;   in Loop: Header=BB48_62 Depth=1
	s_waitcnt lgkmcnt(0)
	v_mul_f64 v[7:8], v[7:8], v[17:18]
.LBB48_69:                              ;   in Loop: Header=BB48_62 Depth=1
	s_or_b32 exec_lo, exec_lo, s8
	s_waitcnt lgkmcnt(1)
	ds_bpermute_b32 v17, v24, v7
	s_waitcnt lgkmcnt(1)
	ds_bpermute_b32 v18, v24, v8
	s_mov_b32 s8, exec_lo
	v_cmpx_le_u32_e64 v25, v10
	s_cbranch_execz .LBB48_71
; %bb.70:                               ;   in Loop: Header=BB48_62 Depth=1
	s_waitcnt lgkmcnt(0)
	v_mul_f64 v[7:8], v[7:8], v[17:18]
.LBB48_71:                              ;   in Loop: Header=BB48_62 Depth=1
	s_or_b32 exec_lo, exec_lo, s8
	s_waitcnt lgkmcnt(1)
	ds_bpermute_b32 v17, v26, v7
	s_waitcnt lgkmcnt(1)
	ds_bpermute_b32 v18, v26, v8
	s_mov_b32 s8, exec_lo
	;; [unrolled: 12-line block ×4, first 2 shown]
	v_cmpx_le_u32_e64 v31, v10
	s_cbranch_execz .LBB48_61
; %bb.76:                               ;   in Loop: Header=BB48_62 Depth=1
	s_waitcnt lgkmcnt(0)
	v_mul_f64 v[7:8], v[7:8], v[17:18]
	s_branch .LBB48_61
.LBB48_77:                              ;   in Loop: Header=BB48_62 Depth=1
                                        ; implicit-def: $vgpr7_vgpr8
	s_cbranch_execz .LBB48_62
; %bb.78:
	s_and_saveexec_b32 s8, s2
	s_cbranch_execz .LBB48_80
; %bb.79:
	s_add_i32 s10, s15, 32
	s_mov_b32 s11, 0
	v_mul_f64 v[5:6], v[5:6], v[15:16]
	s_lshl_b64 s[10:11], s[10:11], 4
	v_dual_mov_b32 v7, 2 :: v_dual_mov_b32 v8, 0
	s_add_u32 s10, s4, s10
	s_addc_u32 s11, s5, s11
	s_delay_alu instid0(SALU_CYCLE_1)
	v_dual_mov_b32 v9, s10 :: v_dual_mov_b32 v10, s11
	;;#ASMSTART
	global_store_dwordx4 v[9:10], v[5:8] off	
s_waitcnt vmcnt(0)
	;;#ASMEND
.LBB48_80:
	s_or_b32 exec_lo, exec_lo, s8
	v_cmp_eq_u32_e32 vcc_lo, 0, v0
	s_and_b32 exec_lo, exec_lo, vcc_lo
	s_cbranch_execz .LBB48_82
; %bb.81:
	v_mov_b32_e32 v5, 0
	ds_store_b64 v5, v[15:16] offset:56
.LBB48_82:
	s_or_b32 exec_lo, exec_lo, s3
	s_waitcnt lgkmcnt(0)
	v_cndmask_b32_e64 v6, v20, v12, s2
	v_cndmask_b32_e64 v5, v19, v11, s2
	v_cmp_eq_u32_e32 vcc_lo, 0, v0
	s_barrier
	buffer_gl0_inv
	v_mul_f64 v[5:6], v[1:2], v[5:6]
	v_mov_b32_e32 v7, 0
	s_delay_alu instid0(VALU_DEP_2) | instskip(SKIP_3) | instid1(VALU_DEP_1)
	v_cndmask_b32_e32 v6, v6, v2, vcc_lo
	ds_load_b64 v[7:8], v7 offset:56
	v_cndmask_b32_e32 v5, v5, v1, vcc_lo
	s_waitcnt lgkmcnt(0)
	v_mul_f64 v[5:6], v[5:6], v[7:8]
	s_delay_alu instid0(VALU_DEP_1) | instskip(NEXT) | instid1(VALU_DEP_1)
	v_mul_f64 v[7:8], v[3:4], v[5:6]
	v_mul_f64 v[9:10], v[37:38], v[7:8]
	s_delay_alu instid0(VALU_DEP_1) | instskip(NEXT) | instid1(VALU_DEP_1)
	v_mul_f64 v[11:12], v[39:40], v[9:10]
	;; [unrolled: 3-line block ×7, first 2 shown]
	v_mul_f64 v[33:34], v[61:62], v[31:32]
	s_delay_alu instid0(VALU_DEP_1)
	v_mul_f64 v[35:36], v[63:64], v[33:34]
	s_load_b128 s[8:11], s[0:1], 0x38
	s_branch .LBB48_113
.LBB48_83:
                                        ; implicit-def: $vgpr5_vgpr6_vgpr7_vgpr8_vgpr9_vgpr10_vgpr11_vgpr12_vgpr13_vgpr14_vgpr15_vgpr16_vgpr17_vgpr18_vgpr19_vgpr20_vgpr21_vgpr22_vgpr23_vgpr24_vgpr25_vgpr26_vgpr27_vgpr28_vgpr29_vgpr30_vgpr31_vgpr32_vgpr33_vgpr34_vgpr35_vgpr36
	s_load_b128 s[8:11], s[0:1], 0x38
	s_cbranch_execz .LBB48_113
; %bb.84:
	s_load_b32 s2, s[0:1], 0x48
	v_cmp_eq_u32_e32 vcc_lo, 0, v0
	s_waitcnt lgkmcnt(0)
	s_bitcmp1_b32 s2, 0
	v_cmp_ne_u32_e64 s2, 0, v0
	s_cselect_b32 s3, -1, 0
	s_delay_alu instid0(SALU_CYCLE_1) | instskip(NEXT) | instid1(SALU_CYCLE_1)
	s_and_b32 s15, vcc_lo, s3
	s_and_saveexec_b32 s3, s15
	s_cbranch_execz .LBB48_86
; %bb.85:
	s_load_b64 s[8:9], s[8:9], 0x0
	s_waitcnt lgkmcnt(0)
	v_mul_f64 v[1:2], v[1:2], s[8:9]
.LBB48_86:
	s_or_b32 exec_lo, exec_lo, s3
	s_delay_alu instid0(VALU_DEP_1) | instskip(SKIP_1) | instid1(VALU_DEP_1)
	v_mul_f64 v[33:34], v[1:2], v[3:4]
	s_mov_b32 s8, exec_lo
	v_mul_f64 v[5:6], v[37:38], v[33:34]
	s_delay_alu instid0(VALU_DEP_1) | instskip(NEXT) | instid1(VALU_DEP_1)
	v_mul_f64 v[7:8], v[39:40], v[5:6]
	v_mul_f64 v[9:10], v[41:42], v[7:8]
	s_delay_alu instid0(VALU_DEP_1) | instskip(NEXT) | instid1(VALU_DEP_1)
	v_mul_f64 v[11:12], v[43:44], v[9:10]
	;; [unrolled: 3-line block ×7, first 2 shown]
	v_dual_mov_b32 v36, v32 :: v_dual_and_b32 v87, 15, v86
	s_delay_alu instid0(VALU_DEP_2)
	v_mov_b32_dpp v67, v31 row_shr:1 row_mask:0xf bank_mask:0xf
	v_mov_b32_dpp v68, v32 row_shr:1 row_mask:0xf bank_mask:0xf
	v_dual_mov_b32 v35, v31 :: v_dual_mov_b32 v66, v32
	v_mov_b32_e32 v65, v31
	v_cmpx_ne_u32_e32 0, v87
; %bb.87:
	s_delay_alu instid0(VALU_DEP_4) | instskip(NEXT) | instid1(VALU_DEP_1)
	v_mul_f64 v[35:36], v[31:32], v[67:68]
	v_dual_mov_b32 v66, v36 :: v_dual_mov_b32 v65, v35
; %bb.88:
	s_or_b32 exec_lo, exec_lo, s8
	s_delay_alu instid0(VALU_DEP_1) | instskip(NEXT) | instid1(VALU_DEP_2)
	v_mov_b32_dpp v67, v65 row_shr:2 row_mask:0xf bank_mask:0xf
	v_mov_b32_dpp v68, v66 row_shr:2 row_mask:0xf bank_mask:0xf
	s_mov_b32 s8, exec_lo
	v_cmpx_lt_u32_e32 1, v87
; %bb.89:
	s_delay_alu instid0(VALU_DEP_2) | instskip(NEXT) | instid1(VALU_DEP_1)
	v_mul_f64 v[65:66], v[35:36], v[67:68]
	v_dual_mov_b32 v35, v65 :: v_dual_mov_b32 v36, v66
; %bb.90:
	s_or_b32 exec_lo, exec_lo, s8
	v_mov_b32_dpp v67, v65 row_shr:4 row_mask:0xf bank_mask:0xf
	v_mov_b32_dpp v68, v66 row_shr:4 row_mask:0xf bank_mask:0xf
	s_mov_b32 s8, exec_lo
	v_cmpx_lt_u32_e32 3, v87
; %bb.91:
	s_delay_alu instid0(VALU_DEP_2) | instskip(NEXT) | instid1(VALU_DEP_1)
	v_mul_f64 v[65:66], v[35:36], v[67:68]
	v_dual_mov_b32 v35, v65 :: v_dual_mov_b32 v36, v66
; %bb.92:
	s_or_b32 exec_lo, exec_lo, s8
	;; [unrolled: 10-line block ×3, first 2 shown]
	ds_swizzle_b32 v65, v65 offset:swizzle(BROADCAST,32,15)
	ds_swizzle_b32 v66, v66 offset:swizzle(BROADCAST,32,15)
	v_and_b32_e32 v67, 16, v86
	s_mov_b32 s8, exec_lo
	s_delay_alu instid0(VALU_DEP_1)
	v_cmpx_ne_u32_e32 0, v67
	s_cbranch_execz .LBB48_96
; %bb.95:
	s_waitcnt lgkmcnt(0)
	v_mul_f64 v[35:36], v[35:36], v[65:66]
.LBB48_96:
	s_or_b32 exec_lo, exec_lo, s8
	s_waitcnt lgkmcnt(1)
	v_or_b32_e32 v65, 31, v0
	v_lshrrev_b32_e32 v87, 5, v0
	s_mov_b32 s8, exec_lo
	s_delay_alu instid0(VALU_DEP_2)
	v_cmpx_eq_u32_e64 v65, v0
	s_cbranch_execz .LBB48_98
; %bb.97:
	s_delay_alu instid0(VALU_DEP_2)
	v_lshlrev_b32_e32 v65, 3, v87
	ds_store_b64 v65, v[35:36]
.LBB48_98:
	s_or_b32 exec_lo, exec_lo, s8
	s_delay_alu instid0(SALU_CYCLE_1)
	s_mov_b32 s8, exec_lo
	s_waitcnt lgkmcnt(0)
	s_barrier
	buffer_gl0_inv
	v_cmpx_gt_u32_e32 8, v0
	s_cbranch_execz .LBB48_106
; %bb.99:
	ds_load_b64 v[65:66], v84
	v_and_b32_e32 v88, 7, v86
	s_mov_b32 s9, exec_lo
	s_waitcnt lgkmcnt(0)
	v_mov_b32_dpp v67, v65 row_shr:1 row_mask:0xf bank_mask:0xf
	v_mov_b32_dpp v68, v66 row_shr:1 row_mask:0xf bank_mask:0xf
	v_cmpx_ne_u32_e32 0, v88
; %bb.100:
	s_delay_alu instid0(VALU_DEP_2)
	v_mul_f64 v[65:66], v[65:66], v[67:68]
; %bb.101:
	s_or_b32 exec_lo, exec_lo, s9
	s_delay_alu instid0(VALU_DEP_1) | instskip(NEXT) | instid1(VALU_DEP_2)
	v_mov_b32_dpp v67, v65 row_shr:2 row_mask:0xf bank_mask:0xf
	v_mov_b32_dpp v68, v66 row_shr:2 row_mask:0xf bank_mask:0xf
	s_mov_b32 s9, exec_lo
	v_cmpx_lt_u32_e32 1, v88
; %bb.102:
	s_delay_alu instid0(VALU_DEP_2)
	v_mul_f64 v[65:66], v[65:66], v[67:68]
; %bb.103:
	s_or_b32 exec_lo, exec_lo, s9
	s_delay_alu instid0(VALU_DEP_1) | instskip(NEXT) | instid1(VALU_DEP_2)
	v_mov_b32_dpp v67, v65 row_shr:4 row_mask:0xf bank_mask:0xf
	v_mov_b32_dpp v68, v66 row_shr:4 row_mask:0xf bank_mask:0xf
	s_mov_b32 s9, exec_lo
	v_cmpx_lt_u32_e32 3, v88
; %bb.104:
	s_delay_alu instid0(VALU_DEP_2)
	v_mul_f64 v[65:66], v[65:66], v[67:68]
; %bb.105:
	s_or_b32 exec_lo, exec_lo, s9
	ds_store_b64 v84, v[65:66]
.LBB48_106:
	s_or_b32 exec_lo, exec_lo, s8
	s_delay_alu instid0(SALU_CYCLE_1)
	s_mov_b32 s8, exec_lo
	s_waitcnt lgkmcnt(0)
	s_barrier
	buffer_gl0_inv
                                        ; implicit-def: $vgpr65_vgpr66
	v_cmpx_lt_u32_e32 31, v0
	s_cbranch_execz .LBB48_108
; %bb.107:
	v_lshl_add_u32 v65, v87, 3, -8
	ds_load_b64 v[65:66], v65
	s_waitcnt lgkmcnt(0)
	v_mul_f64 v[35:36], v[35:36], v[65:66]
.LBB48_108:
	s_or_b32 exec_lo, exec_lo, s8
	v_add_nc_u32_e32 v67, -1, v86
	s_delay_alu instid0(VALU_DEP_1) | instskip(NEXT) | instid1(VALU_DEP_1)
	v_cmp_gt_i32_e64 s3, 0, v67
	v_cndmask_b32_e64 v67, v67, v86, s3
	s_delay_alu instid0(VALU_DEP_1)
	v_lshlrev_b32_e32 v67, 2, v67
	ds_bpermute_b32 v35, v67, v35
	ds_bpermute_b32 v36, v67, v36
	s_and_saveexec_b32 s3, s2
	s_cbranch_execz .LBB48_110
; %bb.109:
	v_cmp_eq_u32_e64 s2, 0, v86
	s_waitcnt lgkmcnt(0)
	s_delay_alu instid0(VALU_DEP_1) | instskip(SKIP_1) | instid1(VALU_DEP_1)
	v_cndmask_b32_e64 v6, v36, v66, s2
	v_cndmask_b32_e64 v5, v35, v65, s2
	v_mul_f64 v[1:2], v[1:2], v[5:6]
	s_delay_alu instid0(VALU_DEP_1) | instskip(NEXT) | instid1(VALU_DEP_1)
	v_mul_f64 v[33:34], v[3:4], v[1:2]
	v_mul_f64 v[5:6], v[37:38], v[33:34]
	s_delay_alu instid0(VALU_DEP_1) | instskip(NEXT) | instid1(VALU_DEP_1)
	v_mul_f64 v[7:8], v[39:40], v[5:6]
	;; [unrolled: 3-line block ×7, first 2 shown]
	v_mul_f64 v[29:30], v[61:62], v[27:28]
	s_delay_alu instid0(VALU_DEP_1)
	v_mul_f64 v[31:32], v[63:64], v[29:30]
.LBB48_110:
	s_or_b32 exec_lo, exec_lo, s3
	s_and_saveexec_b32 s2, vcc_lo
	s_cbranch_execz .LBB48_112
; %bb.111:
	v_dual_mov_b32 v38, 0 :: v_dual_mov_b32 v37, 2
	s_add_u32 s4, s4, 0x200
	s_addc_u32 s5, s5, 0
	s_delay_alu instid0(SALU_CYCLE_1)
	v_dual_mov_b32 v3, s4 :: v_dual_mov_b32 v4, s5
	s_waitcnt lgkmcnt(0)
	ds_load_b64 v[35:36], v38 offset:56
	s_waitcnt lgkmcnt(0)
	;;#ASMSTART
	global_store_dwordx4 v[3:4], v[35:38] off	
s_waitcnt vmcnt(0)
	;;#ASMEND
.LBB48_112:
	s_or_b32 exec_lo, exec_lo, s2
	v_dual_mov_b32 v3, v33 :: v_dual_mov_b32 v4, v34
	s_waitcnt lgkmcnt(0)
	s_delay_alu instid0(VALU_DEP_2) | instskip(NEXT) | instid1(VALU_DEP_3)
	v_mov_b32_e32 v36, v32
	v_dual_mov_b32 v35, v31 :: v_dual_mov_b32 v34, v30
	v_dual_mov_b32 v33, v29 :: v_dual_mov_b32 v32, v28
	v_mov_b32_e32 v31, v27
	v_mov_b32_e32 v30, v26
	;; [unrolled: 1-line block ×27, first 2 shown]
.LBB48_113:
	v_lshlrev_b32_e32 v2, 7, v0
	v_lshrrev_b32_e32 v1, 5, v0
	s_add_u32 s2, s6, s12
	s_addc_u32 s3, s7, s13
	s_and_b32 vcc_lo, exec_lo, s17
	s_mov_b32 s4, -1
	s_waitcnt lgkmcnt(0)
	s_barrier
	buffer_gl0_inv
	s_cbranch_vccz .LBB48_115
; %bb.114:
	v_lshl_add_u32 v3, v85, 3, v2
	v_lshrrev_b32_e32 v4, 5, v82
	v_lshrrev_b32_e32 v37, 5, v81
	v_add_lshl_u32 v38, v1, v0, 3
	v_lshrrev_b32_e32 v43, 5, v80
	ds_store_2addr_b64 v3, v[5:6], v[7:8] offset1:1
	ds_store_2addr_b64 v3, v[9:10], v[11:12] offset0:2 offset1:3
	ds_store_2addr_b64 v3, v[13:14], v[15:16] offset0:4 offset1:5
	;; [unrolled: 1-line block ×7, first 2 shown]
	v_lshrrev_b32_e32 v3, 5, v83
	v_add_lshl_u32 v40, v4, v0, 3
	v_add_lshl_u32 v41, v37, v0, 3
	s_waitcnt lgkmcnt(0)
	s_barrier
	v_add_lshl_u32 v39, v3, v0, 3
	buffer_gl0_inv
	v_lshrrev_b32_e32 v52, 5, v75
	ds_load_b64 v[3:4], v38
	ds_load_b64 v[37:38], v39 offset:2048
	ds_load_b64 v[39:40], v40 offset:4096
	;; [unrolled: 1-line block ×3, first 2 shown]
	v_lshrrev_b32_e32 v44, 5, v79
	v_lshrrev_b32_e32 v53, 5, v74
	;; [unrolled: 1-line block ×5, first 2 shown]
	v_add_lshl_u32 v43, v43, v0, 3
	v_add_lshl_u32 v54, v52, v0, 3
	v_lshrrev_b32_e32 v52, 5, v73
	v_add_lshl_u32 v47, v44, v0, 3
	v_add_lshl_u32 v55, v53, v0, 3
	v_lshrrev_b32_e32 v53, 5, v72
	v_lshrrev_b32_e32 v56, 5, v71
	;; [unrolled: 1-line block ×4, first 2 shown]
	v_add_lshl_u32 v48, v45, v0, 3
	v_add_lshl_u32 v51, v51, v0, 3
	v_add_co_u32 v94, s5, s2, v84
	v_add_lshl_u32 v49, v46, v0, 3
	v_add_co_ci_u32_e64 v95, null, s3, 0, s5
	ds_load_b64 v[43:44], v43 offset:8192
	ds_load_b64 v[45:46], v47 offset:10240
	;; [unrolled: 1-line block ×4, first 2 shown]
	v_add_lshl_u32 v59, v52, v0, 3
	v_add_lshl_u32 v60, v53, v0, 3
	;; [unrolled: 1-line block ×5, first 2 shown]
	ds_load_b64 v[51:52], v51 offset:16384
	ds_load_b64 v[53:54], v54 offset:18432
	;; [unrolled: 1-line block ×8, first 2 shown]
	s_waitcnt lgkmcnt(14)
	global_store_b64 v84, v[37:38], s[2:3] offset:2048
	v_add_co_u32 v37, vcc_lo, 0x1000, v94
	v_add_co_ci_u32_e32 v38, vcc_lo, 0, v95, vcc_lo
	v_add_co_u32 v67, vcc_lo, v94, 0x2000
	v_add_co_ci_u32_e32 v68, vcc_lo, 0, v95, vcc_lo
	;; [unrolled: 2-line block ×6, first 2 shown]
	s_waitcnt lgkmcnt(13)
	global_store_b64 v[67:68], v[39:40], off offset:-4096
	s_waitcnt lgkmcnt(11)
	global_store_b64 v[67:68], v[43:44], off
	s_waitcnt lgkmcnt(9)
	global_store_b64 v[90:91], v[47:48], off offset:-4096
	s_waitcnt lgkmcnt(7)
	s_clause 0x3
	global_store_b64 v[90:91], v[51:52], off
	global_store_b64 v[37:38], v[41:42], off offset:2048
	global_store_b64 v[86:87], v[45:46], off offset:2048
	;; [unrolled: 1-line block ×3, first 2 shown]
	s_waitcnt lgkmcnt(6)
	global_store_b64 v[92:93], v[53:54], off offset:2048
	v_add_co_u32 v37, vcc_lo, v94, 0x6000
	v_add_co_ci_u32_e32 v38, vcc_lo, 0, v95, vcc_lo
	v_add_co_u32 v39, vcc_lo, 0x5000, v94
	v_add_co_ci_u32_e32 v40, vcc_lo, 0, v95, vcc_lo
	;; [unrolled: 2-line block ×4, first 2 shown]
	s_mov_b32 s4, 0
	s_waitcnt lgkmcnt(5)
	s_clause 0x1
	global_store_b64 v[37:38], v[55:56], off offset:-4096
	global_store_b64 v84, v[3:4], s[2:3]
	s_waitcnt lgkmcnt(3)
	s_clause 0x1
	global_store_b64 v[37:38], v[59:60], off
	global_store_b64 v[39:40], v[57:58], off offset:2048
	s_waitcnt lgkmcnt(2)
	global_store_b64 v[41:42], v[61:62], off offset:2048
	s_waitcnt lgkmcnt(1)
	global_store_b64 v[43:44], v[63:64], off
	s_waitcnt lgkmcnt(0)
	global_store_b64 v[43:44], v[65:66], off offset:2048
.LBB48_115:
	s_and_not1_b32 vcc_lo, exec_lo, s4
	s_cbranch_vccnz .LBB48_188
; %bb.116:
	v_lshl_add_u32 v2, v85, 3, v2
	v_lshrrev_b32_e32 v3, 5, v82
	v_lshrrev_b32_e32 v4, 5, v81
	v_add_lshl_u32 v1, v1, v0, 3
	ds_store_2addr_b64 v2, v[5:6], v[7:8] offset1:1
	ds_store_2addr_b64 v2, v[9:10], v[11:12] offset0:2 offset1:3
	ds_store_2addr_b64 v2, v[13:14], v[15:16] offset0:4 offset1:5
	;; [unrolled: 1-line block ×7, first 2 shown]
	v_lshrrev_b32_e32 v2, 5, v83
	v_lshrrev_b32_e32 v10, 5, v80
	;; [unrolled: 1-line block ×3, first 2 shown]
	v_add_lshl_u32 v6, v3, v0, 3
	v_lshrrev_b32_e32 v12, 5, v78
	v_add_lshl_u32 v2, v2, v0, 3
	v_add_lshl_u32 v8, v4, v0, 3
	v_lshrrev_b32_e32 v13, 5, v77
	s_waitcnt lgkmcnt(0)
	s_waitcnt_vscnt null, 0x0
	s_barrier
	buffer_gl0_inv
	ds_load_b64 v[4:5], v1
	ds_load_b64 v[2:3], v2 offset:2048
	ds_load_b64 v[6:7], v6 offset:4096
	;; [unrolled: 1-line block ×3, first 2 shown]
	v_add_lshl_u32 v1, v10, v0, 3
	v_lshrrev_b32_e32 v18, 5, v76
	v_add_lshl_u32 v14, v11, v0, 3
	v_lshrrev_b32_e32 v19, 5, v75
	v_lshrrev_b32_e32 v20, 5, v74
	v_add_lshl_u32 v15, v12, v0, 3
	v_add_lshl_u32 v16, v13, v0, 3
	ds_load_b64 v[10:11], v1 offset:8192
	ds_load_b64 v[12:13], v14 offset:10240
	;; [unrolled: 1-line block ×4, first 2 shown]
	v_add_lshl_u32 v1, v18, v0, 3
	v_lshrrev_b32_e32 v18, 5, v73
	v_add_lshl_u32 v21, v19, v0, 3
	v_add_lshl_u32 v22, v20, v0, 3
	v_lshrrev_b32_e32 v19, 5, v72
	v_lshrrev_b32_e32 v20, 5, v71
	;; [unrolled: 1-line block ×4, first 2 shown]
	v_add_lshl_u32 v25, v18, v0, 3
	v_add_lshl_u32 v26, v19, v0, 3
	v_add_lshl_u32 v28, v20, v0, 3
	v_add_lshl_u32 v30, v23, v0, 3
	v_add_lshl_u32 v32, v24, v0, 3
	ds_load_b64 v[18:19], v1 offset:16384
	ds_load_b64 v[20:21], v21 offset:18432
	;; [unrolled: 1-line block ×8, first 2 shown]
	v_add_co_u32 v34, s2, s2, v84
	v_mov_b32_e32 v1, 0
	v_add_co_ci_u32_e64 v35, null, s3, 0, s2
	s_mov_b32 s2, exec_lo
	v_cmpx_gt_u32_e64 s14, v0
	s_cbranch_execnz .LBB48_204
; %bb.117:
	s_or_b32 exec_lo, exec_lo, s2
	s_delay_alu instid0(SALU_CYCLE_1)
	s_mov_b32 s2, exec_lo
	v_cmpx_gt_u32_e64 s14, v83
	s_cbranch_execnz .LBB48_205
.LBB48_118:
	s_or_b32 exec_lo, exec_lo, s2
	s_delay_alu instid0(SALU_CYCLE_1)
	s_mov_b32 s2, exec_lo
	v_cmpx_gt_u32_e64 s14, v82
	s_cbranch_execnz .LBB48_206
.LBB48_119:
	s_or_b32 exec_lo, exec_lo, s2
	s_delay_alu instid0(SALU_CYCLE_1)
	s_mov_b32 s2, exec_lo
	v_cmpx_gt_u32_e64 s14, v81
	s_cbranch_execnz .LBB48_207
.LBB48_120:
	s_or_b32 exec_lo, exec_lo, s2
	s_delay_alu instid0(SALU_CYCLE_1)
	s_mov_b32 s2, exec_lo
	v_cmpx_gt_u32_e64 s14, v80
	s_cbranch_execnz .LBB48_208
.LBB48_121:
	s_or_b32 exec_lo, exec_lo, s2
	s_delay_alu instid0(SALU_CYCLE_1)
	s_mov_b32 s2, exec_lo
	v_cmpx_gt_u32_e64 s14, v79
	s_cbranch_execnz .LBB48_209
.LBB48_122:
	s_or_b32 exec_lo, exec_lo, s2
	s_delay_alu instid0(SALU_CYCLE_1)
	s_mov_b32 s2, exec_lo
	v_cmpx_gt_u32_e64 s14, v78
	s_cbranch_execnz .LBB48_210
.LBB48_123:
	s_or_b32 exec_lo, exec_lo, s2
	s_delay_alu instid0(SALU_CYCLE_1)
	s_mov_b32 s2, exec_lo
	v_cmpx_gt_u32_e64 s14, v77
	s_cbranch_execnz .LBB48_211
.LBB48_124:
	s_or_b32 exec_lo, exec_lo, s2
	s_delay_alu instid0(SALU_CYCLE_1)
	s_mov_b32 s2, exec_lo
	v_cmpx_gt_u32_e64 s14, v76
	s_cbranch_execnz .LBB48_212
.LBB48_125:
	s_or_b32 exec_lo, exec_lo, s2
	s_delay_alu instid0(SALU_CYCLE_1)
	s_mov_b32 s2, exec_lo
	v_cmpx_gt_u32_e64 s14, v75
	s_cbranch_execnz .LBB48_213
.LBB48_126:
	s_or_b32 exec_lo, exec_lo, s2
	s_delay_alu instid0(SALU_CYCLE_1)
	s_mov_b32 s2, exec_lo
	v_cmpx_gt_u32_e64 s14, v74
	s_cbranch_execnz .LBB48_214
.LBB48_127:
	s_or_b32 exec_lo, exec_lo, s2
	s_delay_alu instid0(SALU_CYCLE_1)
	s_mov_b32 s2, exec_lo
	v_cmpx_gt_u32_e64 s14, v73
	s_cbranch_execnz .LBB48_215
.LBB48_128:
	s_or_b32 exec_lo, exec_lo, s2
	s_delay_alu instid0(SALU_CYCLE_1)
	s_mov_b32 s2, exec_lo
	v_cmpx_gt_u32_e64 s14, v72
	s_cbranch_execnz .LBB48_216
.LBB48_129:
	s_or_b32 exec_lo, exec_lo, s2
	s_delay_alu instid0(SALU_CYCLE_1)
	s_mov_b32 s2, exec_lo
	v_cmpx_gt_u32_e64 s14, v71
	s_cbranch_execnz .LBB48_217
.LBB48_130:
	s_or_b32 exec_lo, exec_lo, s2
	s_delay_alu instid0(SALU_CYCLE_1)
	s_mov_b32 s2, exec_lo
	v_cmpx_gt_u32_e64 s14, v70
	s_cbranch_execnz .LBB48_218
.LBB48_131:
	s_or_b32 exec_lo, exec_lo, s2
	s_delay_alu instid0(SALU_CYCLE_1)
	s_mov_b32 s2, exec_lo
	v_cmpx_gt_u32_e64 s14, v69
	s_cbranch_execz .LBB48_133
.LBB48_132:
	v_add_co_u32 v34, vcc_lo, 0x7000, v34
	v_add_co_ci_u32_e32 v35, vcc_lo, 0, v35, vcc_lo
	s_waitcnt lgkmcnt(0)
	global_store_b64 v[34:35], v[32:33], off offset:2048
.LBB48_133:
	s_or_b32 exec_lo, exec_lo, s2
	s_load_b32 s0, s[0:1], 0x48
	s_waitcnt lgkmcnt(0)
	s_bfe_u32 s0, s0, 0x10008
	s_delay_alu instid0(SALU_CYCLE_1)
	s_cmp_eq_u32 s0, 0
	s_cbranch_scc1 .LBB48_188
; %bb.134:
	s_add_u32 s0, s14, -1
	s_addc_u32 s1, s16, -1
	s_delay_alu instid0(SALU_CYCLE_1)
	s_lshr_b64 s[2:3], s[0:1], 4
	s_mov_b32 s1, exec_lo
	v_cmpx_eq_u64_e64 s[2:3], v[0:1]
	s_cbranch_execz .LBB48_188
; %bb.135:
	s_and_b32 s0, s0, 15
	s_mov_b32 s1, 0
	s_delay_alu instid0(SALU_CYCLE_1) | instskip(NEXT) | instid1(VALU_DEP_1)
	v_cmp_lt_i64_e64 s2, s[0:1], 8
	s_and_b32 vcc_lo, exec_lo, s2
	s_mov_b32 s2, -1
	s_cbranch_vccnz .LBB48_162
; %bb.136:
	v_cmp_lt_i64_e64 s2, s[0:1], 12
	s_delay_alu instid0(VALU_DEP_1)
	s_and_b32 vcc_lo, exec_lo, s2
	s_mov_b32 s2, -1
	s_cbranch_vccnz .LBB48_149
; %bb.137:
	v_cmp_lt_i64_e64 s2, s[0:1], 14
	s_delay_alu instid0(VALU_DEP_1)
	s_and_b32 vcc_lo, exec_lo, s2
	s_mov_b32 s2, -1
	s_cbranch_vccnz .LBB48_143
; %bb.138:
	v_cmp_gt_i64_e64 s2, s[0:1], 14
	s_delay_alu instid0(VALU_DEP_1)
	s_and_b32 vcc_lo, exec_lo, s2
	s_mov_b32 s2, -1
	s_cbranch_vccz .LBB48_140
; %bb.139:
	v_mov_b32_e32 v0, 0
	s_mov_b32 s2, 0
	global_store_b64 v0, v[32:33], s[10:11]
.LBB48_140:
	s_and_not1_b32 vcc_lo, exec_lo, s2
	s_cbranch_vccnz .LBB48_142
; %bb.141:
	v_mov_b32_e32 v0, 0
	global_store_b64 v0, v[30:31], s[10:11]
.LBB48_142:
	s_mov_b32 s2, 0
.LBB48_143:
	s_delay_alu instid0(SALU_CYCLE_1)
	s_and_not1_b32 vcc_lo, exec_lo, s2
	s_cbranch_vccnz .LBB48_148
; %bb.144:
	v_cmp_gt_i64_e64 s2, s[0:1], 12
	s_delay_alu instid0(VALU_DEP_1)
	s_and_b32 vcc_lo, exec_lo, s2
	s_mov_b32 s2, -1
	s_cbranch_vccz .LBB48_146
; %bb.145:
	v_mov_b32_e32 v0, 0
	s_mov_b32 s2, 0
	global_store_b64 v0, v[28:29], s[10:11]
.LBB48_146:
	s_and_not1_b32 vcc_lo, exec_lo, s2
	s_cbranch_vccnz .LBB48_148
; %bb.147:
	v_mov_b32_e32 v0, 0
	global_store_b64 v0, v[26:27], s[10:11]
.LBB48_148:
	s_mov_b32 s2, 0
.LBB48_149:
	s_delay_alu instid0(SALU_CYCLE_1)
	s_and_not1_b32 vcc_lo, exec_lo, s2
	s_cbranch_vccnz .LBB48_161
; %bb.150:
	v_cmp_lt_i64_e64 s2, s[0:1], 10
	s_delay_alu instid0(VALU_DEP_1)
	s_and_b32 vcc_lo, exec_lo, s2
	s_mov_b32 s2, -1
	s_cbranch_vccnz .LBB48_156
; %bb.151:
	v_cmp_gt_i64_e64 s2, s[0:1], 10
	s_delay_alu instid0(VALU_DEP_1)
	s_and_b32 vcc_lo, exec_lo, s2
	s_mov_b32 s2, -1
	s_cbranch_vccz .LBB48_153
; %bb.152:
	v_mov_b32_e32 v0, 0
	s_mov_b32 s2, 0
	global_store_b64 v0, v[24:25], s[10:11]
.LBB48_153:
	s_and_not1_b32 vcc_lo, exec_lo, s2
	s_cbranch_vccnz .LBB48_155
; %bb.154:
	v_mov_b32_e32 v0, 0
	global_store_b64 v0, v[22:23], s[10:11]
.LBB48_155:
	s_mov_b32 s2, 0
.LBB48_156:
	s_delay_alu instid0(SALU_CYCLE_1)
	s_and_not1_b32 vcc_lo, exec_lo, s2
	s_cbranch_vccnz .LBB48_161
; %bb.157:
	v_cmp_gt_i64_e64 s2, s[0:1], 8
	s_delay_alu instid0(VALU_DEP_1)
	s_and_b32 vcc_lo, exec_lo, s2
	s_mov_b32 s2, -1
	s_cbranch_vccz .LBB48_159
; %bb.158:
	v_mov_b32_e32 v0, 0
	s_mov_b32 s2, 0
	global_store_b64 v0, v[20:21], s[10:11]
.LBB48_159:
	s_and_not1_b32 vcc_lo, exec_lo, s2
	s_cbranch_vccnz .LBB48_161
; %bb.160:
	v_mov_b32_e32 v0, 0
	global_store_b64 v0, v[18:19], s[10:11]
.LBB48_161:
	s_mov_b32 s2, 0
.LBB48_162:
	s_delay_alu instid0(SALU_CYCLE_1)
	s_and_not1_b32 vcc_lo, exec_lo, s2
	s_cbranch_vccnz .LBB48_188
; %bb.163:
	v_cmp_lt_i64_e64 s2, s[0:1], 4
	s_delay_alu instid0(VALU_DEP_1)
	s_and_b32 vcc_lo, exec_lo, s2
	s_mov_b32 s2, -1
	s_cbranch_vccnz .LBB48_176
; %bb.164:
	v_cmp_lt_i64_e64 s2, s[0:1], 6
	s_delay_alu instid0(VALU_DEP_1)
	s_and_b32 vcc_lo, exec_lo, s2
	s_mov_b32 s2, -1
	s_cbranch_vccnz .LBB48_170
; %bb.165:
	v_cmp_gt_i64_e64 s2, s[0:1], 6
	s_delay_alu instid0(VALU_DEP_1)
	s_and_b32 vcc_lo, exec_lo, s2
	s_mov_b32 s2, -1
	s_cbranch_vccz .LBB48_167
; %bb.166:
	v_mov_b32_e32 v0, 0
	s_mov_b32 s2, 0
	global_store_b64 v0, v[16:17], s[10:11]
.LBB48_167:
	s_and_not1_b32 vcc_lo, exec_lo, s2
	s_cbranch_vccnz .LBB48_169
; %bb.168:
	v_mov_b32_e32 v0, 0
	global_store_b64 v0, v[14:15], s[10:11]
.LBB48_169:
	s_mov_b32 s2, 0
.LBB48_170:
	s_delay_alu instid0(SALU_CYCLE_1)
	s_and_not1_b32 vcc_lo, exec_lo, s2
	s_cbranch_vccnz .LBB48_175
; %bb.171:
	v_cmp_gt_i64_e64 s2, s[0:1], 4
	s_delay_alu instid0(VALU_DEP_1)
	s_and_b32 vcc_lo, exec_lo, s2
	s_mov_b32 s2, -1
	s_cbranch_vccz .LBB48_173
; %bb.172:
	v_mov_b32_e32 v0, 0
	s_mov_b32 s2, 0
	global_store_b64 v0, v[12:13], s[10:11]
.LBB48_173:
	s_and_not1_b32 vcc_lo, exec_lo, s2
	s_cbranch_vccnz .LBB48_175
; %bb.174:
	v_mov_b32_e32 v0, 0
	global_store_b64 v0, v[10:11], s[10:11]
.LBB48_175:
	s_mov_b32 s2, 0
.LBB48_176:
	s_delay_alu instid0(SALU_CYCLE_1)
	s_and_not1_b32 vcc_lo, exec_lo, s2
	s_cbranch_vccnz .LBB48_188
; %bb.177:
	v_cmp_lt_i64_e64 s2, s[0:1], 2
	s_delay_alu instid0(VALU_DEP_1)
	s_and_b32 vcc_lo, exec_lo, s2
	s_mov_b32 s2, -1
	s_cbranch_vccnz .LBB48_183
; %bb.178:
	v_cmp_gt_i64_e64 s2, s[0:1], 2
	s_delay_alu instid0(VALU_DEP_1)
	s_and_b32 vcc_lo, exec_lo, s2
	s_mov_b32 s2, -1
	s_cbranch_vccz .LBB48_180
; %bb.179:
	v_mov_b32_e32 v0, 0
	s_mov_b32 s2, 0
	global_store_b64 v0, v[8:9], s[10:11]
.LBB48_180:
	s_and_not1_b32 vcc_lo, exec_lo, s2
	s_cbranch_vccnz .LBB48_182
; %bb.181:
	v_mov_b32_e32 v0, 0
	global_store_b64 v0, v[6:7], s[10:11]
.LBB48_182:
	s_mov_b32 s2, 0
.LBB48_183:
	s_delay_alu instid0(SALU_CYCLE_1)
	s_and_not1_b32 vcc_lo, exec_lo, s2
	s_cbranch_vccnz .LBB48_188
; %bb.184:
	s_cmp_eq_u64 s[0:1], 1
	s_mov_b32 s0, -1
	s_cbranch_scc1 .LBB48_186
; %bb.185:
	v_mov_b32_e32 v0, 0
	s_mov_b32 s0, 0
	global_store_b64 v0, v[4:5], s[10:11]
.LBB48_186:
	s_and_not1_b32 vcc_lo, exec_lo, s0
	s_cbranch_vccnz .LBB48_188
; %bb.187:
	v_mov_b32_e32 v0, 0
	global_store_b64 v0, v[2:3], s[10:11]
.LBB48_188:
	s_nop 0
	s_sendmsg sendmsg(MSG_DEALLOC_VGPRS)
	s_endpgm
.LBB48_189:
	global_load_b64 v[33:34], v[35:36], off
	v_dual_mov_b32 v1, s36 :: v_dual_mov_b32 v2, s37
	v_dual_mov_b32 v3, s38 :: v_dual_mov_b32 v4, s39
	;; [unrolled: 1-line block ×16, first 2 shown]
	s_or_b32 exec_lo, exec_lo, s3
	s_delay_alu instid0(SALU_CYCLE_1)
	s_mov_b32 s2, exec_lo
	v_cmpx_gt_u32_e64 s14, v83
	s_cbranch_execz .LBB48_5
.LBB48_190:
	global_load_b64 v[3:4], v[35:36], off offset:2048
	s_or_b32 exec_lo, exec_lo, s2
	s_delay_alu instid0(SALU_CYCLE_1)
	s_mov_b32 s2, exec_lo
	v_cmpx_gt_u32_e64 s14, v82
	s_cbranch_execz .LBB48_6
.LBB48_191:
	v_add_co_u32 v1, vcc_lo, 0x1000, v35
	v_add_co_ci_u32_e32 v2, vcc_lo, 0, v36, vcc_lo
	global_load_b64 v[5:6], v[1:2], off
	s_or_b32 exec_lo, exec_lo, s2
	s_delay_alu instid0(SALU_CYCLE_1)
	s_mov_b32 s2, exec_lo
	v_cmpx_gt_u32_e64 s14, v81
	s_cbranch_execz .LBB48_7
.LBB48_192:
	v_add_co_u32 v1, vcc_lo, 0x1000, v35
	v_add_co_ci_u32_e32 v2, vcc_lo, 0, v36, vcc_lo
	global_load_b64 v[7:8], v[1:2], off offset:2048
	s_or_b32 exec_lo, exec_lo, s2
	s_delay_alu instid0(SALU_CYCLE_1)
	s_mov_b32 s2, exec_lo
	v_cmpx_gt_u32_e64 s14, v80
	s_cbranch_execz .LBB48_8
.LBB48_193:
	v_add_co_u32 v1, vcc_lo, 0x2000, v35
	v_add_co_ci_u32_e32 v2, vcc_lo, 0, v36, vcc_lo
	global_load_b64 v[9:10], v[1:2], off
	s_or_b32 exec_lo, exec_lo, s2
	s_delay_alu instid0(SALU_CYCLE_1)
	s_mov_b32 s2, exec_lo
	v_cmpx_gt_u32_e64 s14, v79
	s_cbranch_execz .LBB48_9
.LBB48_194:
	v_add_co_u32 v1, vcc_lo, 0x2000, v35
	v_add_co_ci_u32_e32 v2, vcc_lo, 0, v36, vcc_lo
	global_load_b64 v[11:12], v[1:2], off offset:2048
	s_or_b32 exec_lo, exec_lo, s2
	s_delay_alu instid0(SALU_CYCLE_1)
	s_mov_b32 s2, exec_lo
	v_cmpx_gt_u32_e64 s14, v78
	s_cbranch_execz .LBB48_10
.LBB48_195:
	v_add_co_u32 v1, vcc_lo, 0x3000, v35
	v_add_co_ci_u32_e32 v2, vcc_lo, 0, v36, vcc_lo
	global_load_b64 v[13:14], v[1:2], off
	s_or_b32 exec_lo, exec_lo, s2
	s_delay_alu instid0(SALU_CYCLE_1)
	s_mov_b32 s2, exec_lo
	v_cmpx_gt_u32_e64 s14, v77
	s_cbranch_execz .LBB48_11
.LBB48_196:
	v_add_co_u32 v1, vcc_lo, 0x3000, v35
	v_add_co_ci_u32_e32 v2, vcc_lo, 0, v36, vcc_lo
	global_load_b64 v[15:16], v[1:2], off offset:2048
	s_or_b32 exec_lo, exec_lo, s2
	s_delay_alu instid0(SALU_CYCLE_1)
	s_mov_b32 s2, exec_lo
	v_cmpx_gt_u32_e64 s14, v76
	s_cbranch_execz .LBB48_12
.LBB48_197:
	v_add_co_u32 v1, vcc_lo, 0x4000, v35
	v_add_co_ci_u32_e32 v2, vcc_lo, 0, v36, vcc_lo
	global_load_b64 v[17:18], v[1:2], off
	s_or_b32 exec_lo, exec_lo, s2
	s_delay_alu instid0(SALU_CYCLE_1)
	s_mov_b32 s2, exec_lo
	v_cmpx_gt_u32_e64 s14, v75
	s_cbranch_execz .LBB48_13
.LBB48_198:
	v_add_co_u32 v1, vcc_lo, 0x4000, v35
	v_add_co_ci_u32_e32 v2, vcc_lo, 0, v36, vcc_lo
	global_load_b64 v[19:20], v[1:2], off offset:2048
	s_or_b32 exec_lo, exec_lo, s2
	s_delay_alu instid0(SALU_CYCLE_1)
	s_mov_b32 s2, exec_lo
	v_cmpx_gt_u32_e64 s14, v74
	s_cbranch_execz .LBB48_14
.LBB48_199:
	v_add_co_u32 v1, vcc_lo, 0x5000, v35
	v_add_co_ci_u32_e32 v2, vcc_lo, 0, v36, vcc_lo
	global_load_b64 v[21:22], v[1:2], off
	s_or_b32 exec_lo, exec_lo, s2
	s_delay_alu instid0(SALU_CYCLE_1)
	s_mov_b32 s2, exec_lo
	v_cmpx_gt_u32_e64 s14, v73
	s_cbranch_execz .LBB48_15
.LBB48_200:
	v_add_co_u32 v1, vcc_lo, 0x5000, v35
	v_add_co_ci_u32_e32 v2, vcc_lo, 0, v36, vcc_lo
	global_load_b64 v[23:24], v[1:2], off offset:2048
	s_or_b32 exec_lo, exec_lo, s2
	s_delay_alu instid0(SALU_CYCLE_1)
	s_mov_b32 s2, exec_lo
	v_cmpx_gt_u32_e64 s14, v72
	s_cbranch_execz .LBB48_16
.LBB48_201:
	v_add_co_u32 v1, vcc_lo, 0x6000, v35
	v_add_co_ci_u32_e32 v2, vcc_lo, 0, v36, vcc_lo
	global_load_b64 v[25:26], v[1:2], off
	s_or_b32 exec_lo, exec_lo, s2
	s_delay_alu instid0(SALU_CYCLE_1)
	s_mov_b32 s2, exec_lo
	v_cmpx_gt_u32_e64 s14, v71
	s_cbranch_execz .LBB48_17
.LBB48_202:
	v_add_co_u32 v1, vcc_lo, 0x6000, v35
	v_add_co_ci_u32_e32 v2, vcc_lo, 0, v36, vcc_lo
	global_load_b64 v[27:28], v[1:2], off offset:2048
	s_or_b32 exec_lo, exec_lo, s2
	s_delay_alu instid0(SALU_CYCLE_1)
	s_mov_b32 s2, exec_lo
	v_cmpx_gt_u32_e64 s14, v70
	s_cbranch_execz .LBB48_18
.LBB48_203:
	v_add_co_u32 v1, vcc_lo, 0x7000, v35
	v_add_co_ci_u32_e32 v2, vcc_lo, 0, v36, vcc_lo
	global_load_b64 v[29:30], v[1:2], off
	s_or_b32 exec_lo, exec_lo, s2
	s_delay_alu instid0(SALU_CYCLE_1)
	s_mov_b32 s2, exec_lo
	v_cmpx_gt_u32_e64 s14, v69
	s_cbranch_execnz .LBB48_19
	s_branch .LBB48_20
.LBB48_204:
	s_waitcnt lgkmcnt(15)
	global_store_b64 v[34:35], v[4:5], off
	s_or_b32 exec_lo, exec_lo, s2
	s_delay_alu instid0(SALU_CYCLE_1)
	s_mov_b32 s2, exec_lo
	v_cmpx_gt_u32_e64 s14, v83
	s_cbranch_execz .LBB48_118
.LBB48_205:
	s_waitcnt lgkmcnt(14)
	global_store_b64 v[34:35], v[2:3], off offset:2048
	s_or_b32 exec_lo, exec_lo, s2
	s_delay_alu instid0(SALU_CYCLE_1)
	s_mov_b32 s2, exec_lo
	v_cmpx_gt_u32_e64 s14, v82
	s_cbranch_execz .LBB48_119
.LBB48_206:
	v_add_co_u32 v36, vcc_lo, 0x1000, v34
	v_add_co_ci_u32_e32 v37, vcc_lo, 0, v35, vcc_lo
	s_waitcnt lgkmcnt(13)
	global_store_b64 v[36:37], v[6:7], off
	s_or_b32 exec_lo, exec_lo, s2
	s_delay_alu instid0(SALU_CYCLE_1)
	s_mov_b32 s2, exec_lo
	v_cmpx_gt_u32_e64 s14, v81
	s_cbranch_execz .LBB48_120
.LBB48_207:
	v_add_co_u32 v36, vcc_lo, 0x1000, v34
	v_add_co_ci_u32_e32 v37, vcc_lo, 0, v35, vcc_lo
	s_waitcnt lgkmcnt(12)
	global_store_b64 v[36:37], v[8:9], off offset:2048
	s_or_b32 exec_lo, exec_lo, s2
	s_delay_alu instid0(SALU_CYCLE_1)
	s_mov_b32 s2, exec_lo
	v_cmpx_gt_u32_e64 s14, v80
	s_cbranch_execz .LBB48_121
.LBB48_208:
	v_add_co_u32 v36, vcc_lo, 0x2000, v34
	v_add_co_ci_u32_e32 v37, vcc_lo, 0, v35, vcc_lo
	s_waitcnt lgkmcnt(11)
	global_store_b64 v[36:37], v[10:11], off
	s_or_b32 exec_lo, exec_lo, s2
	s_delay_alu instid0(SALU_CYCLE_1)
	s_mov_b32 s2, exec_lo
	v_cmpx_gt_u32_e64 s14, v79
	s_cbranch_execz .LBB48_122
.LBB48_209:
	v_add_co_u32 v36, vcc_lo, 0x2000, v34
	v_add_co_ci_u32_e32 v37, vcc_lo, 0, v35, vcc_lo
	s_waitcnt lgkmcnt(10)
	global_store_b64 v[36:37], v[12:13], off offset:2048
	s_or_b32 exec_lo, exec_lo, s2
	s_delay_alu instid0(SALU_CYCLE_1)
	s_mov_b32 s2, exec_lo
	v_cmpx_gt_u32_e64 s14, v78
	s_cbranch_execz .LBB48_123
.LBB48_210:
	v_add_co_u32 v36, vcc_lo, 0x3000, v34
	v_add_co_ci_u32_e32 v37, vcc_lo, 0, v35, vcc_lo
	s_waitcnt lgkmcnt(9)
	global_store_b64 v[36:37], v[14:15], off
	s_or_b32 exec_lo, exec_lo, s2
	s_delay_alu instid0(SALU_CYCLE_1)
	s_mov_b32 s2, exec_lo
	v_cmpx_gt_u32_e64 s14, v77
	s_cbranch_execz .LBB48_124
.LBB48_211:
	v_add_co_u32 v36, vcc_lo, 0x3000, v34
	v_add_co_ci_u32_e32 v37, vcc_lo, 0, v35, vcc_lo
	s_waitcnt lgkmcnt(8)
	global_store_b64 v[36:37], v[16:17], off offset:2048
	s_or_b32 exec_lo, exec_lo, s2
	s_delay_alu instid0(SALU_CYCLE_1)
	s_mov_b32 s2, exec_lo
	v_cmpx_gt_u32_e64 s14, v76
	s_cbranch_execz .LBB48_125
.LBB48_212:
	v_add_co_u32 v36, vcc_lo, 0x4000, v34
	v_add_co_ci_u32_e32 v37, vcc_lo, 0, v35, vcc_lo
	s_waitcnt lgkmcnt(7)
	global_store_b64 v[36:37], v[18:19], off
	s_or_b32 exec_lo, exec_lo, s2
	s_delay_alu instid0(SALU_CYCLE_1)
	s_mov_b32 s2, exec_lo
	v_cmpx_gt_u32_e64 s14, v75
	s_cbranch_execz .LBB48_126
.LBB48_213:
	v_add_co_u32 v36, vcc_lo, 0x4000, v34
	v_add_co_ci_u32_e32 v37, vcc_lo, 0, v35, vcc_lo
	s_waitcnt lgkmcnt(6)
	global_store_b64 v[36:37], v[20:21], off offset:2048
	s_or_b32 exec_lo, exec_lo, s2
	s_delay_alu instid0(SALU_CYCLE_1)
	s_mov_b32 s2, exec_lo
	v_cmpx_gt_u32_e64 s14, v74
	s_cbranch_execz .LBB48_127
.LBB48_214:
	v_add_co_u32 v36, vcc_lo, 0x5000, v34
	v_add_co_ci_u32_e32 v37, vcc_lo, 0, v35, vcc_lo
	s_waitcnt lgkmcnt(5)
	global_store_b64 v[36:37], v[22:23], off
	s_or_b32 exec_lo, exec_lo, s2
	s_delay_alu instid0(SALU_CYCLE_1)
	s_mov_b32 s2, exec_lo
	v_cmpx_gt_u32_e64 s14, v73
	s_cbranch_execz .LBB48_128
.LBB48_215:
	v_add_co_u32 v36, vcc_lo, 0x5000, v34
	v_add_co_ci_u32_e32 v37, vcc_lo, 0, v35, vcc_lo
	s_waitcnt lgkmcnt(4)
	global_store_b64 v[36:37], v[24:25], off offset:2048
	s_or_b32 exec_lo, exec_lo, s2
	s_delay_alu instid0(SALU_CYCLE_1)
	s_mov_b32 s2, exec_lo
	v_cmpx_gt_u32_e64 s14, v72
	s_cbranch_execz .LBB48_129
.LBB48_216:
	v_add_co_u32 v36, vcc_lo, 0x6000, v34
	v_add_co_ci_u32_e32 v37, vcc_lo, 0, v35, vcc_lo
	s_waitcnt lgkmcnt(3)
	global_store_b64 v[36:37], v[26:27], off
	s_or_b32 exec_lo, exec_lo, s2
	s_delay_alu instid0(SALU_CYCLE_1)
	s_mov_b32 s2, exec_lo
	v_cmpx_gt_u32_e64 s14, v71
	s_cbranch_execz .LBB48_130
.LBB48_217:
	v_add_co_u32 v36, vcc_lo, 0x6000, v34
	v_add_co_ci_u32_e32 v37, vcc_lo, 0, v35, vcc_lo
	s_waitcnt lgkmcnt(2)
	global_store_b64 v[36:37], v[28:29], off offset:2048
	s_or_b32 exec_lo, exec_lo, s2
	s_delay_alu instid0(SALU_CYCLE_1)
	s_mov_b32 s2, exec_lo
	v_cmpx_gt_u32_e64 s14, v70
	s_cbranch_execz .LBB48_131
.LBB48_218:
	v_add_co_u32 v36, vcc_lo, 0x7000, v34
	v_add_co_ci_u32_e32 v37, vcc_lo, 0, v35, vcc_lo
	s_waitcnt lgkmcnt(1)
	global_store_b64 v[36:37], v[30:31], off
	s_or_b32 exec_lo, exec_lo, s2
	s_delay_alu instid0(SALU_CYCLE_1)
	s_mov_b32 s2, exec_lo
	v_cmpx_gt_u32_e64 s14, v69
	s_cbranch_execnz .LBB48_132
	s_branch .LBB48_133
	.section	.rodata,"a",@progbits
	.p2align	6, 0x0
	.amdhsa_kernel _ZN7rocprim17ROCPRIM_304000_NS6detail20lookback_scan_kernelILNS1_25lookback_scan_determinismE0ELb0ENS1_19wrapped_scan_configINS0_14default_configEdEEPKdPdSt10multipliesIdEddNS1_19lookback_scan_stateIdLb0ELb1EEEEEvT2_T3_mT5_T4_T7_jPT6_SK_bb
		.amdhsa_group_segment_fixed_size 33792
		.amdhsa_private_segment_fixed_size 0
		.amdhsa_kernarg_size 76
		.amdhsa_user_sgpr_count 15
		.amdhsa_user_sgpr_dispatch_ptr 0
		.amdhsa_user_sgpr_queue_ptr 0
		.amdhsa_user_sgpr_kernarg_segment_ptr 1
		.amdhsa_user_sgpr_dispatch_id 0
		.amdhsa_user_sgpr_private_segment_size 0
		.amdhsa_wavefront_size32 1
		.amdhsa_uses_dynamic_stack 0
		.amdhsa_enable_private_segment 0
		.amdhsa_system_sgpr_workgroup_id_x 1
		.amdhsa_system_sgpr_workgroup_id_y 0
		.amdhsa_system_sgpr_workgroup_id_z 0
		.amdhsa_system_sgpr_workgroup_info 0
		.amdhsa_system_vgpr_workitem_id 0
		.amdhsa_next_free_vgpr 96
		.amdhsa_next_free_sgpr 68
		.amdhsa_reserve_vcc 1
		.amdhsa_float_round_mode_32 0
		.amdhsa_float_round_mode_16_64 0
		.amdhsa_float_denorm_mode_32 3
		.amdhsa_float_denorm_mode_16_64 3
		.amdhsa_dx10_clamp 1
		.amdhsa_ieee_mode 1
		.amdhsa_fp16_overflow 0
		.amdhsa_workgroup_processor_mode 1
		.amdhsa_memory_ordered 1
		.amdhsa_forward_progress 0
		.amdhsa_shared_vgpr_count 0
		.amdhsa_exception_fp_ieee_invalid_op 0
		.amdhsa_exception_fp_denorm_src 0
		.amdhsa_exception_fp_ieee_div_zero 0
		.amdhsa_exception_fp_ieee_overflow 0
		.amdhsa_exception_fp_ieee_underflow 0
		.amdhsa_exception_fp_ieee_inexact 0
		.amdhsa_exception_int_div_zero 0
	.end_amdhsa_kernel
	.section	.text._ZN7rocprim17ROCPRIM_304000_NS6detail20lookback_scan_kernelILNS1_25lookback_scan_determinismE0ELb0ENS1_19wrapped_scan_configINS0_14default_configEdEEPKdPdSt10multipliesIdEddNS1_19lookback_scan_stateIdLb0ELb1EEEEEvT2_T3_mT5_T4_T7_jPT6_SK_bb,"axG",@progbits,_ZN7rocprim17ROCPRIM_304000_NS6detail20lookback_scan_kernelILNS1_25lookback_scan_determinismE0ELb0ENS1_19wrapped_scan_configINS0_14default_configEdEEPKdPdSt10multipliesIdEddNS1_19lookback_scan_stateIdLb0ELb1EEEEEvT2_T3_mT5_T4_T7_jPT6_SK_bb,comdat
.Lfunc_end48:
	.size	_ZN7rocprim17ROCPRIM_304000_NS6detail20lookback_scan_kernelILNS1_25lookback_scan_determinismE0ELb0ENS1_19wrapped_scan_configINS0_14default_configEdEEPKdPdSt10multipliesIdEddNS1_19lookback_scan_stateIdLb0ELb1EEEEEvT2_T3_mT5_T4_T7_jPT6_SK_bb, .Lfunc_end48-_ZN7rocprim17ROCPRIM_304000_NS6detail20lookback_scan_kernelILNS1_25lookback_scan_determinismE0ELb0ENS1_19wrapped_scan_configINS0_14default_configEdEEPKdPdSt10multipliesIdEddNS1_19lookback_scan_stateIdLb0ELb1EEEEEvT2_T3_mT5_T4_T7_jPT6_SK_bb
                                        ; -- End function
	.section	.AMDGPU.csdata,"",@progbits
; Kernel info:
; codeLenInByte = 9988
; NumSgprs: 70
; NumVgprs: 96
; ScratchSize: 0
; MemoryBound: 1
; FloatMode: 240
; IeeeMode: 1
; LDSByteSize: 33792 bytes/workgroup (compile time only)
; SGPRBlocks: 8
; VGPRBlocks: 11
; NumSGPRsForWavesPerEU: 70
; NumVGPRsForWavesPerEU: 96
; Occupancy: 6
; WaveLimiterHint : 1
; COMPUTE_PGM_RSRC2:SCRATCH_EN: 0
; COMPUTE_PGM_RSRC2:USER_SGPR: 15
; COMPUTE_PGM_RSRC2:TRAP_HANDLER: 0
; COMPUTE_PGM_RSRC2:TGID_X_EN: 1
; COMPUTE_PGM_RSRC2:TGID_Y_EN: 0
; COMPUTE_PGM_RSRC2:TGID_Z_EN: 0
; COMPUTE_PGM_RSRC2:TIDIG_COMP_CNT: 0
	.section	.text._ZN7rocprim17ROCPRIM_304000_NS6detail16transform_kernelINS1_24wrapped_transform_configINS0_14default_configEdEEdPdS6_NS0_8identityIdEEEEvT1_mT2_T3_,"axG",@progbits,_ZN7rocprim17ROCPRIM_304000_NS6detail16transform_kernelINS1_24wrapped_transform_configINS0_14default_configEdEEdPdS6_NS0_8identityIdEEEEvT1_mT2_T3_,comdat
	.protected	_ZN7rocprim17ROCPRIM_304000_NS6detail16transform_kernelINS1_24wrapped_transform_configINS0_14default_configEdEEdPdS6_NS0_8identityIdEEEEvT1_mT2_T3_ ; -- Begin function _ZN7rocprim17ROCPRIM_304000_NS6detail16transform_kernelINS1_24wrapped_transform_configINS0_14default_configEdEEdPdS6_NS0_8identityIdEEEEvT1_mT2_T3_
	.globl	_ZN7rocprim17ROCPRIM_304000_NS6detail16transform_kernelINS1_24wrapped_transform_configINS0_14default_configEdEEdPdS6_NS0_8identityIdEEEEvT1_mT2_T3_
	.p2align	8
	.type	_ZN7rocprim17ROCPRIM_304000_NS6detail16transform_kernelINS1_24wrapped_transform_configINS0_14default_configEdEEdPdS6_NS0_8identityIdEEEEvT1_mT2_T3_,@function
_ZN7rocprim17ROCPRIM_304000_NS6detail16transform_kernelINS1_24wrapped_transform_configINS0_14default_configEdEEdPdS6_NS0_8identityIdEEEEvT1_mT2_T3_: ; @_ZN7rocprim17ROCPRIM_304000_NS6detail16transform_kernelINS1_24wrapped_transform_configINS0_14default_configEdEEdPdS6_NS0_8identityIdEEEEvT1_mT2_T3_
; %bb.0:
	s_clause 0x2
	s_load_b32 s3, s[0:1], 0x20
	s_load_b128 s[4:7], s[0:1], 0x0
	s_load_b64 s[0:1], s[0:1], 0x10
	v_lshlrev_b32_e32 v2, 3, v0
	s_lshl_b32 s2, s15, 9
	s_waitcnt lgkmcnt(0)
	s_add_i32 s7, s3, -1
	s_mov_b32 s3, 0
	s_cmp_lg_u32 s15, s7
	s_mov_b32 s7, -1
	s_cbranch_scc0 .LBB49_2
; %bb.1:
	s_lshl_b64 s[8:9], s[2:3], 3
	s_mov_b32 s7, s3
	s_add_u32 s10, s4, s8
	s_addc_u32 s11, s5, s9
	s_add_u32 s8, s0, s8
	global_load_b64 v[3:4], v2, s[10:11]
	s_addc_u32 s9, s1, s9
	s_waitcnt vmcnt(0)
	global_store_b64 v2, v[3:4], s[8:9]
.LBB49_2:
	s_and_not1_b32 vcc_lo, exec_lo, s7
	s_cbranch_vccnz .LBB49_7
; %bb.3:
	s_sub_i32 s6, s6, s2
	s_delay_alu instid0(SALU_CYCLE_1)
	v_cmp_gt_u32_e32 vcc_lo, s6, v0
                                        ; implicit-def: $vgpr0_vgpr1
	s_and_saveexec_b32 s6, vcc_lo
	s_cbranch_execz .LBB49_5
; %bb.4:
	s_lshl_b64 s[8:9], s[2:3], 3
	s_delay_alu instid0(SALU_CYCLE_1)
	s_add_u32 s4, s4, s8
	s_addc_u32 s5, s5, s9
	global_load_b64 v[0:1], v2, s[4:5]
.LBB49_5:
	s_or_b32 exec_lo, exec_lo, s6
	s_and_saveexec_b32 s4, vcc_lo
	s_cbranch_execz .LBB49_7
; %bb.6:
	s_lshl_b64 s[2:3], s[2:3], 3
	s_delay_alu instid0(SALU_CYCLE_1)
	s_add_u32 s0, s0, s2
	s_addc_u32 s1, s1, s3
	s_waitcnt vmcnt(0)
	global_store_b64 v2, v[0:1], s[0:1]
.LBB49_7:
	s_nop 0
	s_sendmsg sendmsg(MSG_DEALLOC_VGPRS)
	s_endpgm
	.section	.rodata,"a",@progbits
	.p2align	6, 0x0
	.amdhsa_kernel _ZN7rocprim17ROCPRIM_304000_NS6detail16transform_kernelINS1_24wrapped_transform_configINS0_14default_configEdEEdPdS6_NS0_8identityIdEEEEvT1_mT2_T3_
		.amdhsa_group_segment_fixed_size 0
		.amdhsa_private_segment_fixed_size 0
		.amdhsa_kernarg_size 288
		.amdhsa_user_sgpr_count 15
		.amdhsa_user_sgpr_dispatch_ptr 0
		.amdhsa_user_sgpr_queue_ptr 0
		.amdhsa_user_sgpr_kernarg_segment_ptr 1
		.amdhsa_user_sgpr_dispatch_id 0
		.amdhsa_user_sgpr_private_segment_size 0
		.amdhsa_wavefront_size32 1
		.amdhsa_uses_dynamic_stack 0
		.amdhsa_enable_private_segment 0
		.amdhsa_system_sgpr_workgroup_id_x 1
		.amdhsa_system_sgpr_workgroup_id_y 0
		.amdhsa_system_sgpr_workgroup_id_z 0
		.amdhsa_system_sgpr_workgroup_info 0
		.amdhsa_system_vgpr_workitem_id 0
		.amdhsa_next_free_vgpr 5
		.amdhsa_next_free_sgpr 16
		.amdhsa_reserve_vcc 1
		.amdhsa_float_round_mode_32 0
		.amdhsa_float_round_mode_16_64 0
		.amdhsa_float_denorm_mode_32 3
		.amdhsa_float_denorm_mode_16_64 3
		.amdhsa_dx10_clamp 1
		.amdhsa_ieee_mode 1
		.amdhsa_fp16_overflow 0
		.amdhsa_workgroup_processor_mode 1
		.amdhsa_memory_ordered 1
		.amdhsa_forward_progress 0
		.amdhsa_shared_vgpr_count 0
		.amdhsa_exception_fp_ieee_invalid_op 0
		.amdhsa_exception_fp_denorm_src 0
		.amdhsa_exception_fp_ieee_div_zero 0
		.amdhsa_exception_fp_ieee_overflow 0
		.amdhsa_exception_fp_ieee_underflow 0
		.amdhsa_exception_fp_ieee_inexact 0
		.amdhsa_exception_int_div_zero 0
	.end_amdhsa_kernel
	.section	.text._ZN7rocprim17ROCPRIM_304000_NS6detail16transform_kernelINS1_24wrapped_transform_configINS0_14default_configEdEEdPdS6_NS0_8identityIdEEEEvT1_mT2_T3_,"axG",@progbits,_ZN7rocprim17ROCPRIM_304000_NS6detail16transform_kernelINS1_24wrapped_transform_configINS0_14default_configEdEEdPdS6_NS0_8identityIdEEEEvT1_mT2_T3_,comdat
.Lfunc_end49:
	.size	_ZN7rocprim17ROCPRIM_304000_NS6detail16transform_kernelINS1_24wrapped_transform_configINS0_14default_configEdEEdPdS6_NS0_8identityIdEEEEvT1_mT2_T3_, .Lfunc_end49-_ZN7rocprim17ROCPRIM_304000_NS6detail16transform_kernelINS1_24wrapped_transform_configINS0_14default_configEdEEdPdS6_NS0_8identityIdEEEEvT1_mT2_T3_
                                        ; -- End function
	.section	.AMDGPU.csdata,"",@progbits
; Kernel info:
; codeLenInByte = 208
; NumSgprs: 18
; NumVgprs: 5
; ScratchSize: 0
; MemoryBound: 0
; FloatMode: 240
; IeeeMode: 1
; LDSByteSize: 0 bytes/workgroup (compile time only)
; SGPRBlocks: 2
; VGPRBlocks: 0
; NumSGPRsForWavesPerEU: 18
; NumVGPRsForWavesPerEU: 5
; Occupancy: 16
; WaveLimiterHint : 0
; COMPUTE_PGM_RSRC2:SCRATCH_EN: 0
; COMPUTE_PGM_RSRC2:USER_SGPR: 15
; COMPUTE_PGM_RSRC2:TRAP_HANDLER: 0
; COMPUTE_PGM_RSRC2:TGID_X_EN: 1
; COMPUTE_PGM_RSRC2:TGID_Y_EN: 0
; COMPUTE_PGM_RSRC2:TGID_Z_EN: 0
; COMPUTE_PGM_RSRC2:TIDIG_COMP_CNT: 0
	.section	.text._ZN7rocprim17ROCPRIM_304000_NS6detail18single_scan_kernelILb0ENS1_19wrapped_scan_configINS0_14default_configEdEEPKdPdSt10multipliesIdEddEEvT1_mT4_T2_T3_,"axG",@progbits,_ZN7rocprim17ROCPRIM_304000_NS6detail18single_scan_kernelILb0ENS1_19wrapped_scan_configINS0_14default_configEdEEPKdPdSt10multipliesIdEddEEvT1_mT4_T2_T3_,comdat
	.protected	_ZN7rocprim17ROCPRIM_304000_NS6detail18single_scan_kernelILb0ENS1_19wrapped_scan_configINS0_14default_configEdEEPKdPdSt10multipliesIdEddEEvT1_mT4_T2_T3_ ; -- Begin function _ZN7rocprim17ROCPRIM_304000_NS6detail18single_scan_kernelILb0ENS1_19wrapped_scan_configINS0_14default_configEdEEPKdPdSt10multipliesIdEddEEvT1_mT4_T2_T3_
	.globl	_ZN7rocprim17ROCPRIM_304000_NS6detail18single_scan_kernelILb0ENS1_19wrapped_scan_configINS0_14default_configEdEEPKdPdSt10multipliesIdEddEEvT1_mT4_T2_T3_
	.p2align	8
	.type	_ZN7rocprim17ROCPRIM_304000_NS6detail18single_scan_kernelILb0ENS1_19wrapped_scan_configINS0_14default_configEdEEPKdPdSt10multipliesIdEddEEvT1_mT4_T2_T3_,@function
_ZN7rocprim17ROCPRIM_304000_NS6detail18single_scan_kernelILb0ENS1_19wrapped_scan_configINS0_14default_configEdEEPKdPdSt10multipliesIdEddEEvT1_mT4_T2_T3_: ; @_ZN7rocprim17ROCPRIM_304000_NS6detail18single_scan_kernelILb0ENS1_19wrapped_scan_configINS0_14default_configEdEEPKdPdSt10multipliesIdEddEEvT1_mT4_T2_T3_
; %bb.0:
	s_load_b128 s[16:19], s[0:1], 0x0
	s_waitcnt lgkmcnt(0)
	s_load_b64 s[36:37], s[16:17], 0x0
	v_cmp_gt_u32_e32 vcc_lo, s18, v0
	s_waitcnt lgkmcnt(0)
	s_mov_b32 s38, s36
	s_mov_b32 s39, s37
	;; [unrolled: 1-line block ×30, first 2 shown]
	v_lshlrev_b32_e32 v69, 3, v0
	v_dual_mov_b32 v1, s36 :: v_dual_mov_b32 v4, s39
	v_dual_mov_b32 v2, s37 :: v_dual_mov_b32 v33, s36
	s_delay_alu instid0(VALU_DEP_3) | instskip(NEXT) | instid1(VALU_DEP_1)
	v_add_co_u32 v35, s2, s16, v69
	v_add_co_ci_u32_e64 v36, null, s17, 0, s2
	v_dual_mov_b32 v3, s38 :: v_dual_mov_b32 v6, s41
	v_dual_mov_b32 v5, s40 :: v_dual_mov_b32 v8, s43
	v_dual_mov_b32 v7, s42 :: v_dual_mov_b32 v10, s45
	v_dual_mov_b32 v9, s44 :: v_dual_mov_b32 v12, s47
	v_dual_mov_b32 v11, s46 :: v_dual_mov_b32 v14, s49
	v_dual_mov_b32 v13, s48 :: v_dual_mov_b32 v16, s51
	v_dual_mov_b32 v15, s50 :: v_dual_mov_b32 v18, s53
	v_dual_mov_b32 v17, s52 :: v_dual_mov_b32 v20, s55
	v_dual_mov_b32 v19, s54 :: v_dual_mov_b32 v22, s57
	v_dual_mov_b32 v21, s56 :: v_dual_mov_b32 v24, s59
	v_dual_mov_b32 v23, s58 :: v_dual_mov_b32 v26, s61
	v_dual_mov_b32 v25, s60 :: v_dual_mov_b32 v28, s63
	v_dual_mov_b32 v27, s62 :: v_dual_mov_b32 v30, s65
	v_dual_mov_b32 v29, s64 :: v_dual_mov_b32 v32, s67
	v_dual_mov_b32 v31, s66 :: v_dual_mov_b32 v34, s37
	s_and_saveexec_b32 s2, vcc_lo
	s_cbranch_execz .LBB50_2
; %bb.1:
	global_load_b64 v[33:34], v[35:36], off
	v_dual_mov_b32 v1, s36 :: v_dual_mov_b32 v2, s37
	v_dual_mov_b32 v3, s38 :: v_dual_mov_b32 v4, s39
	;; [unrolled: 1-line block ×16, first 2 shown]
.LBB50_2:
	s_or_b32 exec_lo, exec_lo, s2
	v_or_b32_e32 v1, 0x100, v0
	s_delay_alu instid0(VALU_DEP_1) | instskip(NEXT) | instid1(VALU_DEP_1)
	v_cmp_gt_u32_e64 s2, s18, v1
	s_and_saveexec_b32 s3, s2
	s_cbranch_execz .LBB50_4
; %bb.3:
	global_load_b64 v[3:4], v[35:36], off offset:2048
.LBB50_4:
	s_or_b32 exec_lo, exec_lo, s3
	v_or_b32_e32 v2, 0x200, v0
	s_delay_alu instid0(VALU_DEP_1) | instskip(NEXT) | instid1(VALU_DEP_1)
	v_cmp_gt_u32_e64 s3, s18, v2
	s_and_saveexec_b32 s5, s3
	s_cbranch_execz .LBB50_6
; %bb.5:
	v_add_co_u32 v5, s4, 0x1000, v35
	s_delay_alu instid0(VALU_DEP_1)
	v_add_co_ci_u32_e64 v6, s4, 0, v36, s4
	global_load_b64 v[5:6], v[5:6], off
.LBB50_6:
	s_or_b32 exec_lo, exec_lo, s5
	v_or_b32_e32 v37, 0x300, v0
	s_delay_alu instid0(VALU_DEP_1) | instskip(NEXT) | instid1(VALU_DEP_1)
	v_cmp_gt_u32_e64 s4, s18, v37
	s_and_saveexec_b32 s6, s4
	s_cbranch_execz .LBB50_8
; %bb.7:
	v_add_co_u32 v7, s5, 0x1000, v35
	s_delay_alu instid0(VALU_DEP_1)
	v_add_co_ci_u32_e64 v8, s5, 0, v36, s5
	global_load_b64 v[7:8], v[7:8], off offset:2048
.LBB50_8:
	s_or_b32 exec_lo, exec_lo, s6
	v_or_b32_e32 v38, 0x400, v0
	s_delay_alu instid0(VALU_DEP_1) | instskip(NEXT) | instid1(VALU_DEP_1)
	v_cmp_gt_u32_e64 s5, s18, v38
	s_and_saveexec_b32 s7, s5
	s_cbranch_execz .LBB50_10
; %bb.9:
	v_add_co_u32 v9, s6, 0x2000, v35
	s_delay_alu instid0(VALU_DEP_1)
	v_add_co_ci_u32_e64 v10, s6, 0, v36, s6
	global_load_b64 v[9:10], v[9:10], off
.LBB50_10:
	s_or_b32 exec_lo, exec_lo, s7
	v_or_b32_e32 v39, 0x500, v0
	s_delay_alu instid0(VALU_DEP_1) | instskip(NEXT) | instid1(VALU_DEP_1)
	v_cmp_gt_u32_e64 s6, s18, v39
	s_and_saveexec_b32 s8, s6
	s_cbranch_execz .LBB50_12
; %bb.11:
	v_add_co_u32 v11, s7, 0x2000, v35
	s_delay_alu instid0(VALU_DEP_1)
	v_add_co_ci_u32_e64 v12, s7, 0, v36, s7
	global_load_b64 v[11:12], v[11:12], off offset:2048
.LBB50_12:
	;; [unrolled: 24-line block ×7, first 2 shown]
	s_or_b32 exec_lo, exec_lo, s18
	v_lshrrev_b32_e32 v1, 2, v1
	v_lshrrev_b32_e32 v2, 2, v2
	;; [unrolled: 1-line block ×5, first 2 shown]
	v_and_b32_e32 v1, 0x78, v1
	v_and_b32_e32 v2, 0xf8, v2
	v_mbcnt_lo_u32_b32 v88, -1, 0
	v_and_b32_e32 v87, 56, v35
	v_lshrrev_b32_e32 v35, 2, v38
	v_add_nc_u32_e32 v71, v1, v69
	v_and_b32_e32 v1, 0xf8, v36
	v_add_nc_u32_e32 v72, v2, v69
	v_and_b32_e32 v2, 0x1f8, v37
	v_add_nc_u32_e32 v70, v87, v69
	s_waitcnt vmcnt(0)
	ds_store_b64 v70, v[33:34]
	ds_store_b64 v71, v[3:4] offset:2048
	v_add_nc_u32_e32 v73, v1, v69
	v_lshrrev_b32_e32 v1, 2, v40
	v_add_nc_u32_e32 v75, v2, v69
	v_lshrrev_b32_e32 v2, 2, v41
	v_lshrrev_b32_e32 v3, 2, v42
	;; [unrolled: 1-line block ×3, first 2 shown]
	v_and_b32_e32 v1, 0x1f8, v1
	v_and_b32_e32 v35, 0x1f8, v35
	ds_store_b64 v72, v[5:6] offset:4096
	v_and_b32_e32 v3, 0x3f8, v3
	v_and_b32_e32 v4, 0x3f8, v4
	v_add_nc_u32_e32 v76, v1, v69
	v_and_b32_e32 v1, 0x1f8, v2
	v_lshrrev_b32_e32 v2, 2, v44
	v_add_nc_u32_e32 v78, v3, v69
	v_lshrrev_b32_e32 v3, 2, v47
	v_add_nc_u32_e32 v79, v4, v69
	v_add_nc_u32_e32 v77, v1, v69
	v_and_b32_e32 v1, 0x3f8, v2
	v_lshrrev_b32_e32 v2, 2, v45
	v_and_b32_e32 v3, 0x3f8, v3
	v_lshrrev_b32_e32 v4, 2, v48
	v_add_nc_u32_e32 v74, v35, v69
	v_add_nc_u32_e32 v80, v1, v69
	v_and_b32_e32 v1, 0x3f8, v2
	v_lshrrev_b32_e32 v2, 2, v46
	v_add_nc_u32_e32 v83, v3, v69
	v_lshrrev_b32_e32 v3, 1, v0
	v_and_b32_e32 v4, 0x3f8, v4
	v_add_nc_u32_e32 v81, v1, v69
	v_and_b32_e32 v1, 0x3f8, v2
	v_lshrrev_b32_e32 v2, 2, v49
	ds_store_b64 v73, v[7:8] offset:6144
	ds_store_b64 v74, v[9:10] offset:8192
	v_add_nc_u32_e32 v84, v4, v69
	ds_store_b64 v75, v[11:12] offset:10240
	v_add_nc_u32_e32 v82, v1, v69
	v_and_b32_e32 v1, 0x3f8, v2
	v_lshlrev_b32_e32 v2, 4, v0
	ds_store_b64 v76, v[13:14] offset:12288
	ds_store_b64 v77, v[15:16] offset:14336
	;; [unrolled: 1-line block ×4, first 2 shown]
	v_add_nc_u32_e32 v85, v1, v69
	v_add_lshl_u32 v86, v3, v2, 3
	ds_store_b64 v80, v[21:22] offset:20480
	ds_store_b64 v81, v[23:24] offset:22528
	;; [unrolled: 1-line block ×6, first 2 shown]
	s_waitcnt lgkmcnt(0)
	s_barrier
	buffer_gl0_inv
	ds_load_2addr_b64 v[1:4], v86 offset1:1
	ds_load_2addr_b64 v[5:8], v86 offset0:2 offset1:3
	ds_load_2addr_b64 v[13:16], v86 offset0:4 offset1:5
	;; [unrolled: 1-line block ×7, first 2 shown]
	v_and_b32_e32 v89, 15, v88
	s_mov_b32 s18, exec_lo
	s_waitcnt lgkmcnt(0)
	s_barrier
	buffer_gl0_inv
	v_mul_f64 v[61:62], v[1:2], v[3:4]
	s_delay_alu instid0(VALU_DEP_1) | instskip(NEXT) | instid1(VALU_DEP_1)
	v_mul_f64 v[57:58], v[61:62], v[5:6]
	v_mul_f64 v[59:60], v[57:58], v[7:8]
	s_delay_alu instid0(VALU_DEP_1) | instskip(NEXT) | instid1(VALU_DEP_1)
	v_mul_f64 v[53:54], v[59:60], v[13:14]
	;; [unrolled: 3-line block ×7, first 2 shown]
	v_mul_f64 v[35:36], v[33:34], v[27:28]
	s_delay_alu instid0(VALU_DEP_1)
	v_dual_mov_b32 v65, v35 :: v_dual_mov_b32 v64, v36
	v_mov_b32_dpp v67, v35 row_shr:1 row_mask:0xf bank_mask:0xf
	v_mov_b32_dpp v68, v36 row_shr:1 row_mask:0xf bank_mask:0xf
	v_dual_mov_b32 v63, v35 :: v_dual_mov_b32 v66, v36
	v_cmpx_ne_u32_e32 0, v89
; %bb.33:
	s_delay_alu instid0(VALU_DEP_3) | instskip(NEXT) | instid1(VALU_DEP_1)
	v_mul_f64 v[63:64], v[35:36], v[67:68]
	v_dual_mov_b32 v66, v64 :: v_dual_mov_b32 v65, v63
; %bb.34:
	s_or_b32 exec_lo, exec_lo, s18
	s_delay_alu instid0(VALU_DEP_1) | instskip(NEXT) | instid1(VALU_DEP_2)
	v_mov_b32_dpp v67, v65 row_shr:2 row_mask:0xf bank_mask:0xf
	v_mov_b32_dpp v68, v66 row_shr:2 row_mask:0xf bank_mask:0xf
	s_mov_b32 s18, exec_lo
	v_cmpx_lt_u32_e32 1, v89
; %bb.35:
	s_delay_alu instid0(VALU_DEP_2) | instskip(NEXT) | instid1(VALU_DEP_1)
	v_mul_f64 v[65:66], v[63:64], v[67:68]
	v_dual_mov_b32 v63, v65 :: v_dual_mov_b32 v64, v66
; %bb.36:
	s_or_b32 exec_lo, exec_lo, s18
	v_mov_b32_dpp v67, v65 row_shr:4 row_mask:0xf bank_mask:0xf
	v_mov_b32_dpp v68, v66 row_shr:4 row_mask:0xf bank_mask:0xf
	s_mov_b32 s18, exec_lo
	v_cmpx_lt_u32_e32 3, v89
; %bb.37:
	s_delay_alu instid0(VALU_DEP_2) | instskip(NEXT) | instid1(VALU_DEP_1)
	v_mul_f64 v[65:66], v[63:64], v[67:68]
	v_dual_mov_b32 v63, v65 :: v_dual_mov_b32 v64, v66
; %bb.38:
	s_or_b32 exec_lo, exec_lo, s18
	;; [unrolled: 10-line block ×3, first 2 shown]
	ds_swizzle_b32 v65, v65 offset:swizzle(BROADCAST,32,15)
	ds_swizzle_b32 v66, v66 offset:swizzle(BROADCAST,32,15)
	v_and_b32_e32 v67, 16, v88
	s_mov_b32 s18, exec_lo
	s_delay_alu instid0(VALU_DEP_1)
	v_cmpx_ne_u32_e32 0, v67
	s_cbranch_execz .LBB50_42
; %bb.41:
	s_waitcnt lgkmcnt(0)
	v_mul_f64 v[63:64], v[63:64], v[65:66]
.LBB50_42:
	s_or_b32 exec_lo, exec_lo, s18
	s_waitcnt lgkmcnt(1)
	v_or_b32_e32 v65, 31, v0
	s_mov_b32 s18, exec_lo
	s_delay_alu instid0(VALU_DEP_1)
	v_cmpx_eq_u32_e64 v65, v0
	s_cbranch_execz .LBB50_44
; %bb.43:
	ds_store_b64 v87, v[63:64]
.LBB50_44:
	s_or_b32 exec_lo, exec_lo, s18
	s_delay_alu instid0(SALU_CYCLE_1)
	s_mov_b32 s18, exec_lo
	s_waitcnt lgkmcnt(0)
	s_barrier
	buffer_gl0_inv
	v_cmpx_gt_u32_e32 8, v0
	s_cbranch_execz .LBB50_52
; %bb.45:
	ds_load_b64 v[65:66], v69
	v_and_b32_e32 v89, 7, v88
	s_mov_b32 s19, exec_lo
	s_waitcnt lgkmcnt(0)
	v_mov_b32_dpp v67, v65 row_shr:1 row_mask:0xf bank_mask:0xf
	v_mov_b32_dpp v68, v66 row_shr:1 row_mask:0xf bank_mask:0xf
	v_cmpx_ne_u32_e32 0, v89
; %bb.46:
	s_delay_alu instid0(VALU_DEP_2)
	v_mul_f64 v[65:66], v[65:66], v[67:68]
; %bb.47:
	s_or_b32 exec_lo, exec_lo, s19
	s_delay_alu instid0(VALU_DEP_1) | instskip(NEXT) | instid1(VALU_DEP_2)
	v_mov_b32_dpp v67, v65 row_shr:2 row_mask:0xf bank_mask:0xf
	v_mov_b32_dpp v68, v66 row_shr:2 row_mask:0xf bank_mask:0xf
	s_mov_b32 s19, exec_lo
	v_cmpx_lt_u32_e32 1, v89
; %bb.48:
	s_delay_alu instid0(VALU_DEP_2)
	v_mul_f64 v[65:66], v[65:66], v[67:68]
; %bb.49:
	s_or_b32 exec_lo, exec_lo, s19
	s_delay_alu instid0(VALU_DEP_1) | instskip(NEXT) | instid1(VALU_DEP_2)
	v_mov_b32_dpp v67, v65 row_shr:4 row_mask:0xf bank_mask:0xf
	v_mov_b32_dpp v68, v66 row_shr:4 row_mask:0xf bank_mask:0xf
	s_mov_b32 s19, exec_lo
	v_cmpx_lt_u32_e32 3, v89
; %bb.50:
	s_delay_alu instid0(VALU_DEP_2)
	v_mul_f64 v[65:66], v[65:66], v[67:68]
; %bb.51:
	s_or_b32 exec_lo, exec_lo, s19
	ds_store_b64 v69, v[65:66]
.LBB50_52:
	s_or_b32 exec_lo, exec_lo, s18
	s_delay_alu instid0(SALU_CYCLE_1)
	s_mov_b32 s18, exec_lo
	s_waitcnt lgkmcnt(0)
	s_barrier
	buffer_gl0_inv
                                        ; implicit-def: $vgpr65_vgpr66
	v_cmpx_lt_u32_e32 31, v0
	s_cbranch_execz .LBB50_54
; %bb.53:
	v_add_nc_u32_e32 v65, -8, v87
	ds_load_b64 v[65:66], v65
	s_waitcnt lgkmcnt(0)
	v_mul_f64 v[63:64], v[63:64], v[65:66]
.LBB50_54:
	s_or_b32 exec_lo, exec_lo, s18
	v_add_nc_u32_e32 v67, -1, v88
	s_mov_b32 s18, exec_lo
	s_delay_alu instid0(VALU_DEP_1) | instskip(NEXT) | instid1(VALU_DEP_1)
	v_cmp_gt_i32_e64 s17, 0, v67
	v_cndmask_b32_e64 v67, v67, v88, s17
	s_delay_alu instid0(VALU_DEP_1)
	v_lshlrev_b32_e32 v67, 2, v67
	ds_bpermute_b32 v63, v67, v63
	ds_bpermute_b32 v64, v67, v64
	v_cmpx_ne_u32_e32 0, v0
	s_cbranch_execz .LBB50_56
; %bb.55:
	v_cmp_eq_u32_e64 s17, 0, v88
	s_waitcnt lgkmcnt(0)
	s_delay_alu instid0(VALU_DEP_1) | instskip(SKIP_1) | instid1(VALU_DEP_1)
	v_cndmask_b32_e64 v34, v64, v66, s17
	v_cndmask_b32_e64 v33, v63, v65, s17
	v_mul_f64 v[1:2], v[1:2], v[33:34]
	s_delay_alu instid0(VALU_DEP_1) | instskip(NEXT) | instid1(VALU_DEP_1)
	v_mul_f64 v[61:62], v[3:4], v[1:2]
	v_mul_f64 v[57:58], v[5:6], v[61:62]
	s_delay_alu instid0(VALU_DEP_1) | instskip(NEXT) | instid1(VALU_DEP_1)
	v_mul_f64 v[59:60], v[7:8], v[57:58]
	v_mul_f64 v[53:54], v[13:14], v[59:60]
	s_delay_alu instid0(VALU_DEP_1) | instskip(NEXT) | instid1(VALU_DEP_1)
	v_mul_f64 v[55:56], v[15:16], v[53:54]
	v_mul_f64 v[49:50], v[9:10], v[55:56]
	s_delay_alu instid0(VALU_DEP_1) | instskip(NEXT) | instid1(VALU_DEP_1)
	v_mul_f64 v[51:52], v[11:12], v[49:50]
	v_mul_f64 v[45:46], v[21:22], v[51:52]
	s_delay_alu instid0(VALU_DEP_1) | instskip(NEXT) | instid1(VALU_DEP_1)
	v_mul_f64 v[47:48], v[23:24], v[45:46]
	v_mul_f64 v[41:42], v[17:18], v[47:48]
	s_delay_alu instid0(VALU_DEP_1) | instskip(NEXT) | instid1(VALU_DEP_1)
	v_mul_f64 v[43:44], v[19:20], v[41:42]
	v_mul_f64 v[37:38], v[29:30], v[43:44]
	s_delay_alu instid0(VALU_DEP_1) | instskip(NEXT) | instid1(VALU_DEP_1)
	v_mul_f64 v[39:40], v[31:32], v[37:38]
	v_mul_f64 v[33:34], v[25:26], v[39:40]
	s_delay_alu instid0(VALU_DEP_1)
	v_mul_f64 v[35:36], v[27:28], v[33:34]
.LBB50_56:
	s_or_b32 exec_lo, exec_lo, s18
	s_waitcnt lgkmcnt(0)
	s_barrier
	buffer_gl0_inv
	ds_store_2addr_b64 v86, v[1:2], v[61:62] offset1:1
	ds_store_2addr_b64 v86, v[57:58], v[59:60] offset0:2 offset1:3
	ds_store_2addr_b64 v86, v[53:54], v[55:56] offset0:4 offset1:5
	;; [unrolled: 1-line block ×7, first 2 shown]
	s_waitcnt lgkmcnt(0)
	s_barrier
	buffer_gl0_inv
	ds_load_b64 v[30:31], v71 offset:2048
	ds_load_b64 v[28:29], v72 offset:4096
	;; [unrolled: 1-line block ×15, first 2 shown]
	s_load_b64 s[0:1], s[0:1], 0x18
	s_waitcnt lgkmcnt(0)
	v_add_co_u32 v2, s0, s0, v69
	s_delay_alu instid0(VALU_DEP_1)
	v_add_co_ci_u32_e64 v3, null, s1, 0, s0
	s_and_saveexec_b32 s0, vcc_lo
	s_cbranch_execnz .LBB50_73
; %bb.57:
	s_or_b32 exec_lo, exec_lo, s0
	s_and_saveexec_b32 s0, s2
	s_cbranch_execnz .LBB50_74
.LBB50_58:
	s_or_b32 exec_lo, exec_lo, s0
	s_and_saveexec_b32 s0, s3
	s_cbranch_execnz .LBB50_75
.LBB50_59:
	s_or_b32 exec_lo, exec_lo, s0
	s_and_saveexec_b32 s0, s4
	s_cbranch_execnz .LBB50_76
.LBB50_60:
	s_or_b32 exec_lo, exec_lo, s0
	s_and_saveexec_b32 s0, s5
	s_cbranch_execnz .LBB50_77
.LBB50_61:
	s_or_b32 exec_lo, exec_lo, s0
	s_and_saveexec_b32 s0, s6
	s_cbranch_execnz .LBB50_78
.LBB50_62:
	s_or_b32 exec_lo, exec_lo, s0
	s_and_saveexec_b32 s0, s7
	s_cbranch_execnz .LBB50_79
.LBB50_63:
	s_or_b32 exec_lo, exec_lo, s0
	s_and_saveexec_b32 s0, s8
	s_cbranch_execnz .LBB50_80
.LBB50_64:
	s_or_b32 exec_lo, exec_lo, s0
	s_and_saveexec_b32 s0, s9
	s_cbranch_execnz .LBB50_81
.LBB50_65:
	s_or_b32 exec_lo, exec_lo, s0
	s_and_saveexec_b32 s0, s10
	s_cbranch_execnz .LBB50_82
.LBB50_66:
	s_or_b32 exec_lo, exec_lo, s0
	s_and_saveexec_b32 s0, s11
	s_cbranch_execnz .LBB50_83
.LBB50_67:
	s_or_b32 exec_lo, exec_lo, s0
	s_and_saveexec_b32 s0, s12
	s_cbranch_execnz .LBB50_84
.LBB50_68:
	s_or_b32 exec_lo, exec_lo, s0
	s_and_saveexec_b32 s0, s13
	s_cbranch_execnz .LBB50_85
.LBB50_69:
	s_or_b32 exec_lo, exec_lo, s0
	s_and_saveexec_b32 s0, s14
	s_cbranch_execnz .LBB50_86
.LBB50_70:
	s_or_b32 exec_lo, exec_lo, s0
	s_and_saveexec_b32 s0, s15
	s_cbranch_execnz .LBB50_87
.LBB50_71:
	s_or_b32 exec_lo, exec_lo, s0
	s_and_saveexec_b32 s0, s16
	s_cbranch_execnz .LBB50_88
.LBB50_72:
	s_nop 0
	s_sendmsg sendmsg(MSG_DEALLOC_VGPRS)
	s_endpgm
.LBB50_73:
	ds_load_b64 v[32:33], v70
	s_waitcnt lgkmcnt(0)
	global_store_b64 v[2:3], v[32:33], off
	s_or_b32 exec_lo, exec_lo, s0
	s_and_saveexec_b32 s0, s2
	s_cbranch_execz .LBB50_58
.LBB50_74:
	global_store_b64 v[2:3], v[30:31], off offset:2048
	s_or_b32 exec_lo, exec_lo, s0
	s_and_saveexec_b32 s0, s3
	s_cbranch_execz .LBB50_59
.LBB50_75:
	v_add_co_u32 v30, vcc_lo, 0x1000, v2
	v_add_co_ci_u32_e32 v31, vcc_lo, 0, v3, vcc_lo
	global_store_b64 v[30:31], v[28:29], off
	s_or_b32 exec_lo, exec_lo, s0
	s_and_saveexec_b32 s0, s4
	s_cbranch_execz .LBB50_60
.LBB50_76:
	v_add_co_u32 v28, vcc_lo, 0x1000, v2
	v_add_co_ci_u32_e32 v29, vcc_lo, 0, v3, vcc_lo
	global_store_b64 v[28:29], v[26:27], off offset:2048
	s_or_b32 exec_lo, exec_lo, s0
	s_and_saveexec_b32 s0, s5
	s_cbranch_execz .LBB50_61
.LBB50_77:
	v_add_co_u32 v26, vcc_lo, 0x2000, v2
	v_add_co_ci_u32_e32 v27, vcc_lo, 0, v3, vcc_lo
	global_store_b64 v[26:27], v[24:25], off
	s_or_b32 exec_lo, exec_lo, s0
	s_and_saveexec_b32 s0, s6
	s_cbranch_execz .LBB50_62
.LBB50_78:
	v_add_co_u32 v24, vcc_lo, 0x2000, v2
	v_add_co_ci_u32_e32 v25, vcc_lo, 0, v3, vcc_lo
	global_store_b64 v[24:25], v[22:23], off offset:2048
	s_or_b32 exec_lo, exec_lo, s0
	s_and_saveexec_b32 s0, s7
	s_cbranch_execz .LBB50_63
.LBB50_79:
	v_add_co_u32 v22, vcc_lo, 0x3000, v2
	v_add_co_ci_u32_e32 v23, vcc_lo, 0, v3, vcc_lo
	global_store_b64 v[22:23], v[20:21], off
	s_or_b32 exec_lo, exec_lo, s0
	s_and_saveexec_b32 s0, s8
	s_cbranch_execz .LBB50_64
.LBB50_80:
	v_add_co_u32 v20, vcc_lo, 0x3000, v2
	v_add_co_ci_u32_e32 v21, vcc_lo, 0, v3, vcc_lo
	global_store_b64 v[20:21], v[18:19], off offset:2048
	s_or_b32 exec_lo, exec_lo, s0
	s_and_saveexec_b32 s0, s9
	s_cbranch_execz .LBB50_65
.LBB50_81:
	v_add_co_u32 v18, vcc_lo, 0x4000, v2
	v_add_co_ci_u32_e32 v19, vcc_lo, 0, v3, vcc_lo
	global_store_b64 v[18:19], v[16:17], off
	s_or_b32 exec_lo, exec_lo, s0
	s_and_saveexec_b32 s0, s10
	s_cbranch_execz .LBB50_66
.LBB50_82:
	v_add_co_u32 v16, vcc_lo, 0x4000, v2
	v_add_co_ci_u32_e32 v17, vcc_lo, 0, v3, vcc_lo
	global_store_b64 v[16:17], v[14:15], off offset:2048
	s_or_b32 exec_lo, exec_lo, s0
	s_and_saveexec_b32 s0, s11
	s_cbranch_execz .LBB50_67
.LBB50_83:
	v_add_co_u32 v14, vcc_lo, 0x5000, v2
	v_add_co_ci_u32_e32 v15, vcc_lo, 0, v3, vcc_lo
	global_store_b64 v[14:15], v[12:13], off
	s_or_b32 exec_lo, exec_lo, s0
	s_and_saveexec_b32 s0, s12
	s_cbranch_execz .LBB50_68
.LBB50_84:
	v_add_co_u32 v12, vcc_lo, 0x5000, v2
	v_add_co_ci_u32_e32 v13, vcc_lo, 0, v3, vcc_lo
	global_store_b64 v[12:13], v[10:11], off offset:2048
	s_or_b32 exec_lo, exec_lo, s0
	s_and_saveexec_b32 s0, s13
	s_cbranch_execz .LBB50_69
.LBB50_85:
	v_add_co_u32 v10, vcc_lo, 0x6000, v2
	v_add_co_ci_u32_e32 v11, vcc_lo, 0, v3, vcc_lo
	global_store_b64 v[10:11], v[8:9], off
	s_or_b32 exec_lo, exec_lo, s0
	s_and_saveexec_b32 s0, s14
	s_cbranch_execz .LBB50_70
.LBB50_86:
	v_add_co_u32 v8, vcc_lo, 0x6000, v2
	v_add_co_ci_u32_e32 v9, vcc_lo, 0, v3, vcc_lo
	global_store_b64 v[8:9], v[6:7], off offset:2048
	s_or_b32 exec_lo, exec_lo, s0
	s_and_saveexec_b32 s0, s15
	s_cbranch_execz .LBB50_71
.LBB50_87:
	v_add_co_u32 v6, vcc_lo, 0x7000, v2
	v_add_co_ci_u32_e32 v7, vcc_lo, 0, v3, vcc_lo
	global_store_b64 v[6:7], v[4:5], off
	s_or_b32 exec_lo, exec_lo, s0
	s_and_saveexec_b32 s0, s16
	s_cbranch_execz .LBB50_72
.LBB50_88:
	v_add_co_u32 v2, vcc_lo, 0x7000, v2
	v_add_co_ci_u32_e32 v3, vcc_lo, 0, v3, vcc_lo
	global_store_b64 v[2:3], v[0:1], off offset:2048
	s_nop 0
	s_sendmsg sendmsg(MSG_DEALLOC_VGPRS)
	s_endpgm
	.section	.rodata,"a",@progbits
	.p2align	6, 0x0
	.amdhsa_kernel _ZN7rocprim17ROCPRIM_304000_NS6detail18single_scan_kernelILb0ENS1_19wrapped_scan_configINS0_14default_configEdEEPKdPdSt10multipliesIdEddEEvT1_mT4_T2_T3_
		.amdhsa_group_segment_fixed_size 33792
		.amdhsa_private_segment_fixed_size 0
		.amdhsa_kernarg_size 36
		.amdhsa_user_sgpr_count 15
		.amdhsa_user_sgpr_dispatch_ptr 0
		.amdhsa_user_sgpr_queue_ptr 0
		.amdhsa_user_sgpr_kernarg_segment_ptr 1
		.amdhsa_user_sgpr_dispatch_id 0
		.amdhsa_user_sgpr_private_segment_size 0
		.amdhsa_wavefront_size32 1
		.amdhsa_uses_dynamic_stack 0
		.amdhsa_enable_private_segment 0
		.amdhsa_system_sgpr_workgroup_id_x 1
		.amdhsa_system_sgpr_workgroup_id_y 0
		.amdhsa_system_sgpr_workgroup_id_z 0
		.amdhsa_system_sgpr_workgroup_info 0
		.amdhsa_system_vgpr_workitem_id 0
		.amdhsa_next_free_vgpr 90
		.amdhsa_next_free_sgpr 68
		.amdhsa_reserve_vcc 1
		.amdhsa_float_round_mode_32 0
		.amdhsa_float_round_mode_16_64 0
		.amdhsa_float_denorm_mode_32 3
		.amdhsa_float_denorm_mode_16_64 3
		.amdhsa_dx10_clamp 1
		.amdhsa_ieee_mode 1
		.amdhsa_fp16_overflow 0
		.amdhsa_workgroup_processor_mode 1
		.amdhsa_memory_ordered 1
		.amdhsa_forward_progress 0
		.amdhsa_shared_vgpr_count 0
		.amdhsa_exception_fp_ieee_invalid_op 0
		.amdhsa_exception_fp_denorm_src 0
		.amdhsa_exception_fp_ieee_div_zero 0
		.amdhsa_exception_fp_ieee_overflow 0
		.amdhsa_exception_fp_ieee_underflow 0
		.amdhsa_exception_fp_ieee_inexact 0
		.amdhsa_exception_int_div_zero 0
	.end_amdhsa_kernel
	.section	.text._ZN7rocprim17ROCPRIM_304000_NS6detail18single_scan_kernelILb0ENS1_19wrapped_scan_configINS0_14default_configEdEEPKdPdSt10multipliesIdEddEEvT1_mT4_T2_T3_,"axG",@progbits,_ZN7rocprim17ROCPRIM_304000_NS6detail18single_scan_kernelILb0ENS1_19wrapped_scan_configINS0_14default_configEdEEPKdPdSt10multipliesIdEddEEvT1_mT4_T2_T3_,comdat
.Lfunc_end50:
	.size	_ZN7rocprim17ROCPRIM_304000_NS6detail18single_scan_kernelILb0ENS1_19wrapped_scan_configINS0_14default_configEdEEPKdPdSt10multipliesIdEddEEvT1_mT4_T2_T3_, .Lfunc_end50-_ZN7rocprim17ROCPRIM_304000_NS6detail18single_scan_kernelILb0ENS1_19wrapped_scan_configINS0_14default_configEdEEPKdPdSt10multipliesIdEddEEvT1_mT4_T2_T3_
                                        ; -- End function
	.section	.AMDGPU.csdata,"",@progbits
; Kernel info:
; codeLenInByte = 3864
; NumSgprs: 70
; NumVgprs: 90
; ScratchSize: 0
; MemoryBound: 1
; FloatMode: 240
; IeeeMode: 1
; LDSByteSize: 33792 bytes/workgroup (compile time only)
; SGPRBlocks: 8
; VGPRBlocks: 11
; NumSGPRsForWavesPerEU: 70
; NumVGPRsForWavesPerEU: 90
; Occupancy: 6
; WaveLimiterHint : 0
; COMPUTE_PGM_RSRC2:SCRATCH_EN: 0
; COMPUTE_PGM_RSRC2:USER_SGPR: 15
; COMPUTE_PGM_RSRC2:TRAP_HANDLER: 0
; COMPUTE_PGM_RSRC2:TGID_X_EN: 1
; COMPUTE_PGM_RSRC2:TGID_Y_EN: 0
; COMPUTE_PGM_RSRC2:TGID_Z_EN: 0
; COMPUTE_PGM_RSRC2:TIDIG_COMP_CNT: 0
	.section	.text._ZN2at6native32tensor_kernel_scan_innermost_dimIdSt10multipliesIdEEEvPT_PKS4_jjjS4_T0_,"axG",@progbits,_ZN2at6native32tensor_kernel_scan_innermost_dimIdSt10multipliesIdEEEvPT_PKS4_jjjS4_T0_,comdat
	.protected	_ZN2at6native32tensor_kernel_scan_innermost_dimIdSt10multipliesIdEEEvPT_PKS4_jjjS4_T0_ ; -- Begin function _ZN2at6native32tensor_kernel_scan_innermost_dimIdSt10multipliesIdEEEvPT_PKS4_jjjS4_T0_
	.globl	_ZN2at6native32tensor_kernel_scan_innermost_dimIdSt10multipliesIdEEEvPT_PKS4_jjjS4_T0_
	.p2align	8
	.type	_ZN2at6native32tensor_kernel_scan_innermost_dimIdSt10multipliesIdEEEvPT_PKS4_jjjS4_T0_,@function
_ZN2at6native32tensor_kernel_scan_innermost_dimIdSt10multipliesIdEEEvPT_PKS4_jjjS4_T0_: ; @_ZN2at6native32tensor_kernel_scan_innermost_dimIdSt10multipliesIdEEEvPT_PKS4_jjjS4_T0_
; %bb.0:
	s_clause 0x1
	s_load_b256 s[16:23], s[0:1], 0x0
	s_load_b64 s[6:7], s[0:1], 0x20
	v_bfe_u32 v12, v0, 10, 10
	s_waitcnt lgkmcnt(0)
	s_lshl_b32 s5, 2, s22
	s_mul_hi_u32 s2, s20, s21
	s_delay_alu instid0(VALU_DEP_1) | instskip(SKIP_3) | instid1(VALU_DEP_1)
	v_mul_lo_u32 v1, s5, v12
	s_mov_b32 s8, s20
	s_cmp_lg_u32 s2, 0
	s_mov_b32 s2, -1
	v_lshl_add_u32 v13, v1, 3, 0
	s_cbranch_scc1 .LBB51_26
; %bb.1:
	s_load_b32 s4, s[0:1], 0x3c
	s_add_u32 s2, s0, 48
	s_addc_u32 s3, s1, 0
	s_waitcnt lgkmcnt(0)
	s_lshr_b32 s4, s4, 16
	s_delay_alu instid0(SALU_CYCLE_1) | instskip(NEXT) | instid1(SALU_CYCLE_1)
	s_mul_i32 s9, s15, s4
	s_cmp_ge_u32 s9, s20
	s_cbranch_scc1 .LBB51_25
; %bb.2:
	s_load_b32 s12, s[2:3], 0x0
	v_dual_mov_b32 v2, 0 :: v_dual_and_b32 v11, 0x3ff, v0
	v_add_nc_u32_e32 v14, -8, v13
	s_lshl_b32 s10, 1, s22
	s_cmp_lg_u32 s21, 0
	s_delay_alu instid0(VALU_DEP_2)
	v_lshl_add_u32 v15, v11, 3, v13
	v_cmp_eq_u32_e64 s2, 0, v11
	v_lshl_add_u32 v16, s5, 3, v14
	s_cselect_b32 s11, -1, 0
	s_add_i32 s13, s22, 1
	v_lshl_add_u32 v17, s10, 3, v15
	s_waitcnt lgkmcnt(0)
	s_mul_i32 s12, s12, s4
	s_branch .LBB51_4
.LBB51_3:                               ;   in Loop: Header=BB51_4 Depth=1
	s_add_i32 s9, s9, s12
	s_delay_alu instid0(SALU_CYCLE_1)
	s_cmp_ge_u32 s9, s20
	s_cbranch_scc1 .LBB51_25
.LBB51_4:                               ; =>This Loop Header: Depth=1
                                        ;     Child Loop BB51_7 Depth 2
                                        ;       Child Loop BB51_16 Depth 3
	s_and_not1_b32 vcc_lo, exec_lo, s11
	s_cbranch_vccnz .LBB51_3
; %bb.5:                                ;   in Loop: Header=BB51_4 Depth=1
	v_add_nc_u32_e32 v5, s9, v12
	s_mov_b32 s14, 0
	s_delay_alu instid0(VALU_DEP_1) | instskip(SKIP_3) | instid1(VALU_DEP_4)
	v_mul_lo_u32 v1, v5, s21
	v_cmp_gt_u32_e32 vcc_lo, s20, v5
	v_cmp_le_u32_e64 s3, s20, v5
	v_dual_mov_b32 v5, s6 :: v_dual_mov_b32 v6, s7
	v_lshlrev_b64 v[3:4], 3, v[1:2]
	s_delay_alu instid0(VALU_DEP_1) | instskip(NEXT) | instid1(VALU_DEP_1)
	v_add_co_u32 v18, s4, s18, v3
	v_add_co_ci_u32_e64 v19, s4, s19, v4, s4
	v_add_co_u32 v20, s4, s16, v3
	s_delay_alu instid0(VALU_DEP_1)
	v_add_co_ci_u32_e64 v21, s4, s17, v4, s4
	s_branch .LBB51_7
.LBB51_6:                               ;   in Loop: Header=BB51_7 Depth=2
	s_or_b32 exec_lo, exec_lo, s23
	ds_load_b64 v[5:6], v16
	s_add_i32 s14, s14, s5
	s_waitcnt lgkmcnt(0)
	s_waitcnt_vscnt null, 0x0
	s_cmp_ge_u32 s14, s21
	s_barrier
	buffer_gl0_inv
	s_cbranch_scc1 .LBB51_3
.LBB51_7:                               ;   Parent Loop BB51_4 Depth=1
                                        ; =>  This Loop Header: Depth=2
                                        ;       Child Loop BB51_16 Depth 3
	v_add_nc_u32_e32 v1, s14, v11
	s_delay_alu instid0(VALU_DEP_1)
	v_add_nc_u32_e32 v3, s10, v1
	s_and_saveexec_b32 s23, vcc_lo
	s_cbranch_execz .LBB51_14
; %bb.8:                                ;   in Loop: Header=BB51_7 Depth=2
	v_dual_mov_b32 v8, s7 :: v_dual_mov_b32 v7, s6
	s_mov_b32 s24, exec_lo
	v_cmpx_gt_u32_e64 s21, v1
	s_cbranch_execz .LBB51_10
; %bb.9:                                ;   in Loop: Header=BB51_7 Depth=2
	v_lshlrev_b64 v[7:8], 3, v[1:2]
	s_delay_alu instid0(VALU_DEP_1) | instskip(NEXT) | instid1(VALU_DEP_1)
	v_add_co_u32 v7, s4, v18, v7
	v_add_co_ci_u32_e64 v8, s4, v19, v8, s4
	global_load_b64 v[7:8], v[7:8], off
.LBB51_10:                              ;   in Loop: Header=BB51_7 Depth=2
	s_or_b32 exec_lo, exec_lo, s24
	v_dual_mov_b32 v10, s7 :: v_dual_mov_b32 v9, s6
	s_mov_b32 s24, exec_lo
	s_waitcnt vmcnt(0)
	ds_store_b64 v15, v[7:8]
	v_cmpx_gt_u32_e64 s21, v3
	s_cbranch_execz .LBB51_12
; %bb.11:                               ;   in Loop: Header=BB51_7 Depth=2
	v_mov_b32_e32 v4, v2
	s_delay_alu instid0(VALU_DEP_1) | instskip(NEXT) | instid1(VALU_DEP_1)
	v_lshlrev_b64 v[7:8], 3, v[3:4]
	v_add_co_u32 v7, s4, v18, v7
	s_delay_alu instid0(VALU_DEP_1)
	v_add_co_ci_u32_e64 v8, s4, v19, v8, s4
	global_load_b64 v[9:10], v[7:8], off
.LBB51_12:                              ;   in Loop: Header=BB51_7 Depth=2
	s_or_b32 exec_lo, exec_lo, s24
	s_waitcnt vmcnt(0)
	ds_store_b64 v17, v[9:10]
	s_and_b32 exec_lo, exec_lo, s2
	s_cbranch_execz .LBB51_14
; %bb.13:                               ;   in Loop: Header=BB51_7 Depth=2
	ds_load_b64 v[7:8], v13
	s_waitcnt lgkmcnt(0)
	v_mul_f64 v[4:5], v[5:6], v[7:8]
	ds_store_b64 v13, v[4:5]
.LBB51_14:                              ;   in Loop: Header=BB51_7 Depth=2
	s_or_b32 exec_lo, exec_lo, s23
	v_mov_b32_e32 v4, 0
	s_mov_b32 s23, 0
	s_waitcnt lgkmcnt(0)
	s_barrier
	buffer_gl0_inv
	s_set_inst_prefetch_distance 0x1
	s_branch .LBB51_16
	.p2align	6
.LBB51_15:                              ;   in Loop: Header=BB51_16 Depth=3
	s_or_b32 exec_lo, exec_lo, s4
	s_delay_alu instid0(VALU_DEP_1) | instskip(SKIP_4) | instid1(SALU_CYCLE_1)
	v_cmp_eq_u32_e64 s4, s13, v4
	s_waitcnt lgkmcnt(0)
	s_barrier
	buffer_gl0_inv
	s_or_b32 s23, s4, s23
	s_and_not1_b32 exec_lo, exec_lo, s23
	s_cbranch_execz .LBB51_20
.LBB51_16:                              ;   Parent Loop BB51_4 Depth=1
                                        ;     Parent Loop BB51_7 Depth=2
                                        ; =>    This Inner Loop Header: Depth=3
	v_add_nc_u32_e32 v5, 1, v4
	s_and_saveexec_b32 s4, s3
	s_delay_alu instid0(SALU_CYCLE_1)
	s_xor_b32 s4, exec_lo, s4
; %bb.17:                               ;   in Loop: Header=BB51_16 Depth=3
	v_add_nc_u32_e32 v4, 1, v4
                                        ; implicit-def: $vgpr5
; %bb.18:                               ;   in Loop: Header=BB51_16 Depth=3
	s_and_not1_saveexec_b32 s4, s4
	s_cbranch_execz .LBB51_15
; %bb.19:                               ;   in Loop: Header=BB51_16 Depth=3
	s_delay_alu instid0(VALU_DEP_1) | instskip(SKIP_2) | instid1(VALU_DEP_2)
	v_lshlrev_b32_e64 v6, v4, 1
	v_lshrrev_b32_e32 v7, v4, v11
	v_bfm_b32 v4, v4, 0
	v_lshl_or_b32 v6, v7, v5, v6
	s_delay_alu instid0(VALU_DEP_2) | instskip(NEXT) | instid1(VALU_DEP_2)
	v_and_b32_e32 v4, v4, v11
	v_lshlrev_b32_e32 v6, 3, v6
	s_delay_alu instid0(VALU_DEP_2) | instskip(NEXT) | instid1(VALU_DEP_1)
	v_lshlrev_b32_e32 v4, 3, v4
	v_add3_u32 v10, v13, v6, v4
	v_add_nc_u32_e32 v4, v14, v6
	ds_load_b64 v[6:7], v10
	ds_load_b64 v[8:9], v4
	v_mov_b32_e32 v4, v5
	s_waitcnt lgkmcnt(0)
	v_mul_f64 v[6:7], v[6:7], v[8:9]
	ds_store_b64 v10, v[6:7]
	s_branch .LBB51_15
.LBB51_20:                              ;   in Loop: Header=BB51_7 Depth=2
	s_set_inst_prefetch_distance 0x2
	s_or_b32 exec_lo, exec_lo, s23
	s_and_saveexec_b32 s23, vcc_lo
	s_cbranch_execz .LBB51_6
; %bb.21:                               ;   in Loop: Header=BB51_7 Depth=2
	s_mov_b32 s24, exec_lo
	v_cmpx_gt_u32_e64 s21, v1
	s_cbranch_execz .LBB51_23
; %bb.22:                               ;   in Loop: Header=BB51_7 Depth=2
	ds_load_b64 v[4:5], v15
	v_lshlrev_b64 v[6:7], 3, v[1:2]
	s_delay_alu instid0(VALU_DEP_1) | instskip(NEXT) | instid1(VALU_DEP_1)
	v_add_co_u32 v6, s4, v20, v6
	v_add_co_ci_u32_e64 v7, s4, v21, v7, s4
	s_waitcnt lgkmcnt(0)
	global_store_b64 v[6:7], v[4:5], off
.LBB51_23:                              ;   in Loop: Header=BB51_7 Depth=2
	s_or_b32 exec_lo, exec_lo, s24
	v_cmp_gt_u32_e64 s4, s21, v3
	s_delay_alu instid0(VALU_DEP_1)
	s_and_b32 exec_lo, exec_lo, s4
	s_cbranch_execz .LBB51_6
; %bb.24:                               ;   in Loop: Header=BB51_7 Depth=2
	ds_load_b64 v[5:6], v17
	v_mov_b32_e32 v4, v2
	s_delay_alu instid0(VALU_DEP_1) | instskip(NEXT) | instid1(VALU_DEP_1)
	v_lshlrev_b64 v[3:4], 3, v[3:4]
	v_add_co_u32 v3, s4, v20, v3
	s_delay_alu instid0(VALU_DEP_1)
	v_add_co_ci_u32_e64 v4, s4, v21, v4, s4
	s_waitcnt lgkmcnt(0)
	global_store_b64 v[3:4], v[5:6], off
	s_branch .LBB51_6
.LBB51_25:
	s_mov_b32 s2, 0
.LBB51_26:
	s_delay_alu instid0(SALU_CYCLE_1)
	s_and_not1_b32 vcc_lo, exec_lo, s2
	s_cbranch_vccnz .LBB51_53
; %bb.27:
	s_load_b32 s2, s[0:1], 0x3c
	s_add_u32 s0, s0, 48
	s_addc_u32 s1, s1, 0
	s_mov_b32 s9, 0
	s_waitcnt lgkmcnt(0)
	s_lshr_b32 s2, s2, 16
	s_delay_alu instid0(SALU_CYCLE_1) | instskip(SKIP_1) | instid1(SALU_CYCLE_1)
	s_mul_hi_u32 s5, s2, s15
	s_mul_i32 s4, s2, s15
	v_cmp_ge_u64_e64 s3, s[4:5], s[8:9]
	s_delay_alu instid0(VALU_DEP_1)
	s_and_b32 vcc_lo, exec_lo, s3
	s_cbranch_vccnz .LBB51_53
; %bb.28:
	s_load_b32 s1, s[0:1], 0x0
	v_dual_mov_b32 v1, 0 :: v_dual_and_b32 v0, 0x3ff, v0
	s_lshl_b32 s10, 1, s22
	s_and_b32 s2, 0xffff, s2
	s_ashr_i32 s11, s10, 31
	s_cmp_lg_u32 s21, 0
	v_lshl_add_u32 v14, v0, 3, v13
	s_cselect_b32 s3, -1, 0
	s_lshl_b64 s[14:15], s[10:11], 1
	v_cmp_eq_u32_e64 s0, 0, v0
	s_lshl_b32 s13, s14, 3
	v_lshl_add_u32 v16, s10, 3, v14
	v_add3_u32 v15, v13, s13, -8
	s_mov_b32 s12, s21
	s_mov_b32 s13, s9
	s_add_i32 s22, s22, 1
	s_waitcnt lgkmcnt(0)
	s_mul_i32 s23, s1, s2
	s_branch .LBB51_30
.LBB51_29:                              ;   in Loop: Header=BB51_30 Depth=1
	s_add_u32 s4, s4, s23
	s_addc_u32 s5, s5, 0
	s_delay_alu instid0(SALU_CYCLE_1) | instskip(NEXT) | instid1(VALU_DEP_1)
	v_cmp_ge_u64_e64 s1, s[4:5], s[8:9]
	s_and_b32 vcc_lo, exec_lo, s1
	s_cbranch_vccnz .LBB51_53
.LBB51_30:                              ; =>This Loop Header: Depth=1
                                        ;     Child Loop BB51_33 Depth 2
                                        ;       Child Loop BB51_43 Depth 3
	s_and_not1_b32 vcc_lo, exec_lo, s3
	s_cbranch_vccnz .LBB51_29
; %bb.31:                               ;   in Loop: Header=BB51_30 Depth=1
	v_add_co_u32 v2, s1, s4, v12
	s_delay_alu instid0(VALU_DEP_1) | instskip(SKIP_1) | instid1(VALU_DEP_2)
	v_add_co_ci_u32_e64 v3, null, s5, 0, s1
	s_mov_b64 s[20:21], 0
	v_mad_u64_u32 v[4:5], null, v2, s12, 0
	s_delay_alu instid0(VALU_DEP_2) | instskip(SKIP_1) | instid1(VALU_DEP_3)
	v_cmp_gt_u64_e64 s1, s[8:9], v[2:3]
	v_cmp_le_u64_e64 s2, s[8:9], v[2:3]
	v_mad_u64_u32 v[6:7], null, v3, s12, v[5:6]
	s_delay_alu instid0(VALU_DEP_1) | instskip(SKIP_1) | instid1(VALU_DEP_2)
	v_dual_mov_b32 v5, v6 :: v_dual_mov_b32 v6, s6
	v_mov_b32_e32 v7, s7
	v_lshlrev_b64 v[4:5], 3, v[4:5]
	s_delay_alu instid0(VALU_DEP_1) | instskip(NEXT) | instid1(VALU_DEP_2)
	v_add_co_u32 v17, vcc_lo, s18, v4
	v_add_co_ci_u32_e32 v18, vcc_lo, s19, v5, vcc_lo
	v_add_co_u32 v19, vcc_lo, s16, v4
	v_add_co_ci_u32_e32 v20, vcc_lo, s17, v5, vcc_lo
	s_branch .LBB51_33
.LBB51_32:                              ;   in Loop: Header=BB51_33 Depth=2
	s_or_b32 exec_lo, exec_lo, s24
	ds_load_b64 v[6:7], v15
	s_add_u32 s20, s20, s14
	s_addc_u32 s21, s21, s15
	s_waitcnt lgkmcnt(0)
	s_waitcnt_vscnt null, 0x0
	v_cmp_ge_u64_e64 s24, s[20:21], s[12:13]
	s_barrier
	buffer_gl0_inv
	s_and_b32 vcc_lo, exec_lo, s24
	s_cbranch_vccnz .LBB51_29
.LBB51_33:                              ;   Parent Loop BB51_30 Depth=1
                                        ; =>  This Loop Header: Depth=2
                                        ;       Child Loop BB51_43 Depth 3
	v_add_co_u32 v4, s24, s20, v0
	s_delay_alu instid0(VALU_DEP_1) | instskip(NEXT) | instid1(VALU_DEP_2)
	v_add_co_ci_u32_e64 v5, null, s21, 0, s24
	v_add_co_u32 v2, vcc_lo, v4, s10
	s_delay_alu instid0(VALU_DEP_2)
	v_add_co_ci_u32_e32 v3, vcc_lo, s11, v5, vcc_lo
	s_and_saveexec_b32 s24, s1
	s_cbranch_execz .LBB51_40
; %bb.34:                               ;   in Loop: Header=BB51_33 Depth=2
	v_dual_mov_b32 v9, s7 :: v_dual_mov_b32 v8, s6
	s_mov_b32 s25, exec_lo
	v_cmpx_gt_u64_e64 s[12:13], v[4:5]
	s_cbranch_execz .LBB51_36
; %bb.35:                               ;   in Loop: Header=BB51_33 Depth=2
	v_lshlrev_b64 v[8:9], 3, v[4:5]
	s_delay_alu instid0(VALU_DEP_1) | instskip(NEXT) | instid1(VALU_DEP_2)
	v_add_co_u32 v8, vcc_lo, v17, v8
	v_add_co_ci_u32_e32 v9, vcc_lo, v18, v9, vcc_lo
	global_load_b64 v[8:9], v[8:9], off
.LBB51_36:                              ;   in Loop: Header=BB51_33 Depth=2
	s_or_b32 exec_lo, exec_lo, s25
	v_dual_mov_b32 v11, s7 :: v_dual_mov_b32 v10, s6
	s_mov_b32 s25, exec_lo
	s_waitcnt vmcnt(0)
	ds_store_b64 v14, v[8:9]
	v_cmpx_gt_u64_e64 s[12:13], v[2:3]
	s_cbranch_execz .LBB51_38
; %bb.37:                               ;   in Loop: Header=BB51_33 Depth=2
	v_lshlrev_b64 v[8:9], 3, v[2:3]
	s_delay_alu instid0(VALU_DEP_1) | instskip(NEXT) | instid1(VALU_DEP_2)
	v_add_co_u32 v8, vcc_lo, v17, v8
	v_add_co_ci_u32_e32 v9, vcc_lo, v18, v9, vcc_lo
	global_load_b64 v[10:11], v[8:9], off
.LBB51_38:                              ;   in Loop: Header=BB51_33 Depth=2
	s_or_b32 exec_lo, exec_lo, s25
	s_waitcnt vmcnt(0)
	ds_store_b64 v16, v[10:11]
	s_and_b32 exec_lo, exec_lo, s0
	s_cbranch_execz .LBB51_40
; %bb.39:                               ;   in Loop: Header=BB51_33 Depth=2
	ds_load_b64 v[8:9], v13
	s_waitcnt lgkmcnt(0)
	v_mul_f64 v[6:7], v[6:7], v[8:9]
	ds_store_b64 v13, v[6:7]
.LBB51_40:                              ;   in Loop: Header=BB51_33 Depth=2
	s_or_b32 exec_lo, exec_lo, s24
	v_mov_b32_e32 v10, 0
	s_mov_b32 s24, 0
	s_waitcnt lgkmcnt(0)
	s_barrier
	buffer_gl0_inv
	s_branch .LBB51_43
.LBB51_41:                              ;   in Loop: Header=BB51_43 Depth=3
	s_or_b32 exec_lo, exec_lo, s26
	v_lshrrev_b32_e32 v8, v10, v0
	s_delay_alu instid0(VALU_DEP_1) | instskip(NEXT) | instid1(VALU_DEP_1)
	v_lshl_or_b32 v6, v8, v9, v6
	v_lshl_add_u32 v6, v6, 3, v13
	s_delay_alu instid0(VALU_DEP_1)
	v_lshl_add_u32 v8, v7, 3, v6
	v_add_nc_u32_e32 v10, -8, v6
	ds_load_b64 v[6:7], v8
	ds_load_b64 v[10:11], v10
	s_waitcnt lgkmcnt(0)
	v_mul_f64 v[6:7], v[6:7], v[10:11]
	ds_store_b64 v8, v[6:7]
.LBB51_42:                              ;   in Loop: Header=BB51_43 Depth=3
	s_or_b32 exec_lo, exec_lo, s25
	s_delay_alu instid0(VALU_DEP_1)
	v_cmp_eq_u32_e32 vcc_lo, s22, v9
	v_mov_b32_e32 v10, v9
	s_waitcnt lgkmcnt(0)
	s_barrier
	buffer_gl0_inv
	s_or_b32 s24, vcc_lo, s24
	s_delay_alu instid0(SALU_CYCLE_1)
	s_and_not1_b32 exec_lo, exec_lo, s24
	s_cbranch_execz .LBB51_48
.LBB51_43:                              ;   Parent Loop BB51_30 Depth=1
                                        ;     Parent Loop BB51_33 Depth=2
                                        ; =>    This Inner Loop Header: Depth=3
	v_add_nc_u32_e32 v9, 1, v10
	s_and_saveexec_b32 s25, s2
	s_delay_alu instid0(SALU_CYCLE_1)
	s_xor_b32 s25, exec_lo, s25
; %bb.44:                               ;   in Loop: Header=BB51_43 Depth=3
	v_add_nc_u32_e32 v9, 1, v10
                                        ; implicit-def: $vgpr10
; %bb.45:                               ;   in Loop: Header=BB51_43 Depth=3
	s_and_not1_saveexec_b32 s25, s25
	s_cbranch_execz .LBB51_42
; %bb.46:                               ;   in Loop: Header=BB51_43 Depth=3
	v_lshlrev_b32_e64 v6, v10, 1
	s_delay_alu instid0(VALU_DEP_1) | instskip(NEXT) | instid1(VALU_DEP_1)
	v_ashrrev_i32_e32 v7, 31, v6
	v_cmp_ge_u64_e32 vcc_lo, v[0:1], v[6:7]
	v_dual_mov_b32 v8, v1 :: v_dual_mov_b32 v7, v0
	s_and_saveexec_b32 s26, vcc_lo
	s_cbranch_execz .LBB51_41
; %bb.47:                               ;   in Loop: Header=BB51_43 Depth=3
	v_cvt_f32_u32_e32 v7, v6
	v_sub_nc_u32_e32 v8, 0, v6
	s_delay_alu instid0(VALU_DEP_2) | instskip(SKIP_2) | instid1(VALU_DEP_1)
	v_rcp_iflag_f32_e32 v7, v7
	s_waitcnt_depctr 0xfff
	v_mul_f32_e32 v7, 0x4f7ffffe, v7
	v_cvt_u32_f32_e32 v7, v7
	s_delay_alu instid0(VALU_DEP_1) | instskip(NEXT) | instid1(VALU_DEP_1)
	v_mul_lo_u32 v8, v8, v7
	v_mul_hi_u32 v8, v7, v8
	s_delay_alu instid0(VALU_DEP_1) | instskip(NEXT) | instid1(VALU_DEP_1)
	v_add_nc_u32_e32 v7, v7, v8
	v_mul_hi_u32 v7, v0, v7
	s_delay_alu instid0(VALU_DEP_1) | instskip(NEXT) | instid1(VALU_DEP_1)
	v_mul_lo_u32 v7, v7, v6
	v_sub_nc_u32_e32 v7, v0, v7
	s_delay_alu instid0(VALU_DEP_1) | instskip(SKIP_1) | instid1(VALU_DEP_2)
	v_sub_nc_u32_e32 v8, v7, v6
	v_cmp_ge_u32_e32 vcc_lo, v7, v6
	v_cndmask_b32_e32 v7, v7, v8, vcc_lo
	s_delay_alu instid0(VALU_DEP_1) | instskip(SKIP_1) | instid1(VALU_DEP_2)
	v_sub_nc_u32_e32 v8, v7, v6
	v_cmp_ge_u32_e32 vcc_lo, v7, v6
	v_cndmask_b32_e32 v7, v7, v8, vcc_lo
	s_branch .LBB51_41
.LBB51_48:                              ;   in Loop: Header=BB51_33 Depth=2
	s_or_b32 exec_lo, exec_lo, s24
	s_and_saveexec_b32 s24, s1
	s_cbranch_execz .LBB51_32
; %bb.49:                               ;   in Loop: Header=BB51_33 Depth=2
	s_mov_b32 s25, exec_lo
	v_cmpx_gt_u64_e64 s[12:13], v[4:5]
	s_cbranch_execz .LBB51_51
; %bb.50:                               ;   in Loop: Header=BB51_33 Depth=2
	ds_load_b64 v[6:7], v14
	v_lshlrev_b64 v[4:5], 3, v[4:5]
	s_delay_alu instid0(VALU_DEP_1) | instskip(NEXT) | instid1(VALU_DEP_2)
	v_add_co_u32 v4, vcc_lo, v19, v4
	v_add_co_ci_u32_e32 v5, vcc_lo, v20, v5, vcc_lo
	s_waitcnt lgkmcnt(0)
	global_store_b64 v[4:5], v[6:7], off
.LBB51_51:                              ;   in Loop: Header=BB51_33 Depth=2
	s_or_b32 exec_lo, exec_lo, s25
	v_cmp_gt_u64_e32 vcc_lo, s[12:13], v[2:3]
	s_and_b32 exec_lo, exec_lo, vcc_lo
	s_cbranch_execz .LBB51_32
; %bb.52:                               ;   in Loop: Header=BB51_33 Depth=2
	ds_load_b64 v[4:5], v16
	v_lshlrev_b64 v[2:3], 3, v[2:3]
	s_delay_alu instid0(VALU_DEP_1) | instskip(NEXT) | instid1(VALU_DEP_2)
	v_add_co_u32 v2, vcc_lo, v19, v2
	v_add_co_ci_u32_e32 v3, vcc_lo, v20, v3, vcc_lo
	s_waitcnt lgkmcnt(0)
	global_store_b64 v[2:3], v[4:5], off
	s_branch .LBB51_32
.LBB51_53:
	s_endpgm
	.section	.rodata,"a",@progbits
	.p2align	6, 0x0
	.amdhsa_kernel _ZN2at6native32tensor_kernel_scan_innermost_dimIdSt10multipliesIdEEEvPT_PKS4_jjjS4_T0_
		.amdhsa_group_segment_fixed_size 0
		.amdhsa_private_segment_fixed_size 0
		.amdhsa_kernarg_size 304
		.amdhsa_user_sgpr_count 15
		.amdhsa_user_sgpr_dispatch_ptr 0
		.amdhsa_user_sgpr_queue_ptr 0
		.amdhsa_user_sgpr_kernarg_segment_ptr 1
		.amdhsa_user_sgpr_dispatch_id 0
		.amdhsa_user_sgpr_private_segment_size 0
		.amdhsa_wavefront_size32 1
		.amdhsa_uses_dynamic_stack 0
		.amdhsa_enable_private_segment 0
		.amdhsa_system_sgpr_workgroup_id_x 1
		.amdhsa_system_sgpr_workgroup_id_y 0
		.amdhsa_system_sgpr_workgroup_id_z 0
		.amdhsa_system_sgpr_workgroup_info 0
		.amdhsa_system_vgpr_workitem_id 1
		.amdhsa_next_free_vgpr 22
		.amdhsa_next_free_sgpr 27
		.amdhsa_reserve_vcc 1
		.amdhsa_float_round_mode_32 0
		.amdhsa_float_round_mode_16_64 0
		.amdhsa_float_denorm_mode_32 3
		.amdhsa_float_denorm_mode_16_64 3
		.amdhsa_dx10_clamp 1
		.amdhsa_ieee_mode 1
		.amdhsa_fp16_overflow 0
		.amdhsa_workgroup_processor_mode 1
		.amdhsa_memory_ordered 1
		.amdhsa_forward_progress 0
		.amdhsa_shared_vgpr_count 0
		.amdhsa_exception_fp_ieee_invalid_op 0
		.amdhsa_exception_fp_denorm_src 0
		.amdhsa_exception_fp_ieee_div_zero 0
		.amdhsa_exception_fp_ieee_overflow 0
		.amdhsa_exception_fp_ieee_underflow 0
		.amdhsa_exception_fp_ieee_inexact 0
		.amdhsa_exception_int_div_zero 0
	.end_amdhsa_kernel
	.section	.text._ZN2at6native32tensor_kernel_scan_innermost_dimIdSt10multipliesIdEEEvPT_PKS4_jjjS4_T0_,"axG",@progbits,_ZN2at6native32tensor_kernel_scan_innermost_dimIdSt10multipliesIdEEEvPT_PKS4_jjjS4_T0_,comdat
.Lfunc_end51:
	.size	_ZN2at6native32tensor_kernel_scan_innermost_dimIdSt10multipliesIdEEEvPT_PKS4_jjjS4_T0_, .Lfunc_end51-_ZN2at6native32tensor_kernel_scan_innermost_dimIdSt10multipliesIdEEEvPT_PKS4_jjjS4_T0_
                                        ; -- End function
	.section	.AMDGPU.csdata,"",@progbits
; Kernel info:
; codeLenInByte = 2060
; NumSgprs: 29
; NumVgprs: 22
; ScratchSize: 0
; MemoryBound: 0
; FloatMode: 240
; IeeeMode: 1
; LDSByteSize: 0 bytes/workgroup (compile time only)
; SGPRBlocks: 3
; VGPRBlocks: 2
; NumSGPRsForWavesPerEU: 29
; NumVGPRsForWavesPerEU: 22
; Occupancy: 16
; WaveLimiterHint : 0
; COMPUTE_PGM_RSRC2:SCRATCH_EN: 0
; COMPUTE_PGM_RSRC2:USER_SGPR: 15
; COMPUTE_PGM_RSRC2:TRAP_HANDLER: 0
; COMPUTE_PGM_RSRC2:TGID_X_EN: 1
; COMPUTE_PGM_RSRC2:TGID_Y_EN: 0
; COMPUTE_PGM_RSRC2:TGID_Z_EN: 0
; COMPUTE_PGM_RSRC2:TIDIG_COMP_CNT: 1
	.section	.text._ZN2at6native28tensor_kernel_scan_outer_dimIdjSt10multipliesIdEEEvPT_PKS4_jjjS4_T1_,"axG",@progbits,_ZN2at6native28tensor_kernel_scan_outer_dimIdjSt10multipliesIdEEEvPT_PKS4_jjjS4_T1_,comdat
	.protected	_ZN2at6native28tensor_kernel_scan_outer_dimIdjSt10multipliesIdEEEvPT_PKS4_jjjS4_T1_ ; -- Begin function _ZN2at6native28tensor_kernel_scan_outer_dimIdjSt10multipliesIdEEEvPT_PKS4_jjjS4_T1_
	.globl	_ZN2at6native28tensor_kernel_scan_outer_dimIdjSt10multipliesIdEEEvPT_PKS4_jjjS4_T1_
	.p2align	8
	.type	_ZN2at6native28tensor_kernel_scan_outer_dimIdjSt10multipliesIdEEEvPT_PKS4_jjjS4_T1_,@function
_ZN2at6native28tensor_kernel_scan_outer_dimIdjSt10multipliesIdEEEvPT_PKS4_jjjS4_T1_: ; @_ZN2at6native28tensor_kernel_scan_outer_dimIdjSt10multipliesIdEEEvPT_PKS4_jjjS4_T1_
; %bb.0:
	s_load_b128 s[4:7], s[0:1], 0x10
	s_waitcnt lgkmcnt(0)
	s_cmp_ge_u32 s14, s4
	s_cbranch_scc1 .LBB52_9
; %bb.1:
	s_clause 0x3
	s_load_b32 s16, s[0:1], 0x3c
	s_load_b32 s7, s[0:1], 0x30
	s_load_b128 s[8:11], s[0:1], 0x0
	s_load_b64 s[2:3], s[0:1], 0x20
	s_add_u32 s12, s0, 48
	s_addc_u32 s13, s1, 0
	s_mul_i32 s0, s14, s6
	v_mov_b32_e32 v3, 0
	s_mul_i32 s20, s0, s5
	s_mov_b32 s17, 0
	s_waitcnt lgkmcnt(0)
	s_and_b32 s1, s16, 0xffff
	s_mov_b32 s16, s5
	v_mad_u64_u32 v[1:2], null, s15, s1, v[0:1]
	s_cmp_lg_u32 s6, 0
	s_mul_i32 s22, s7, s6
	s_cselect_b32 s15, -1, 0
	s_mul_i32 s22, s22, s5
	s_lshl_b64 s[18:19], s[16:17], 3
	s_mov_b32 s16, s20
	s_delay_alu instid0(VALU_DEP_1)
	v_cmp_gt_u32_e64 s0, s5, v1
	s_set_inst_prefetch_distance 0x1
	s_branch .LBB52_3
	.p2align	6
.LBB52_2:                               ;   in Loop: Header=BB52_3 Depth=1
	s_or_b32 exec_lo, exec_lo, s23
	s_add_i32 s14, s7, s14
	s_add_i32 s16, s16, s22
	s_cmp_ge_u32 s14, s4
	s_cbranch_scc1 .LBB52_9
.LBB52_3:                               ; =>This Loop Header: Depth=1
                                        ;     Child Loop BB52_6 Depth 2
                                        ;       Child Loop BB52_8 Depth 3
	s_delay_alu instid0(VALU_DEP_1)
	s_and_saveexec_b32 s23, s0
	s_cbranch_execz .LBB52_2
; %bb.4:                                ;   in Loop: Header=BB52_3 Depth=1
	s_load_b32 s24, s[12:13], 0x4
	v_mov_b32_e32 v2, v1
	s_lshl_b64 s[20:21], s[16:17], 3
	s_mov_b32 s25, 0
	s_waitcnt lgkmcnt(0)
	s_mul_i32 s24, s24, s1
	s_branch .LBB52_6
	.p2align	6
.LBB52_5:                               ;   in Loop: Header=BB52_6 Depth=2
	v_add_nc_u32_e32 v2, s24, v2
	s_delay_alu instid0(VALU_DEP_1) | instskip(SKIP_1) | instid1(SALU_CYCLE_1)
	v_cmp_le_u32_e32 vcc_lo, s5, v2
	s_or_b32 s25, vcc_lo, s25
	s_and_not1_b32 exec_lo, exec_lo, s25
	s_cbranch_execz .LBB52_2
.LBB52_6:                               ;   Parent Loop BB52_3 Depth=1
                                        ; =>  This Loop Header: Depth=2
                                        ;       Child Loop BB52_8 Depth 3
	s_and_not1_b32 vcc_lo, exec_lo, s15
	s_cbranch_vccnz .LBB52_5
; %bb.7:                                ;   in Loop: Header=BB52_6 Depth=2
	v_lshlrev_b64 v[4:5], 3, v[2:3]
	s_mov_b32 s26, s6
	s_delay_alu instid0(VALU_DEP_1) | instskip(NEXT) | instid1(VALU_DEP_2)
	v_add_co_u32 v0, vcc_lo, s20, v4
	v_add_co_ci_u32_e32 v6, vcc_lo, s21, v5, vcc_lo
	v_dual_mov_b32 v5, s3 :: v_dual_mov_b32 v4, s2
	.p2align	6
.LBB52_8:                               ;   Parent Loop BB52_3 Depth=1
                                        ;     Parent Loop BB52_6 Depth=2
                                        ; =>    This Inner Loop Header: Depth=3
	s_delay_alu instid0(VALU_DEP_3) | instskip(NEXT) | instid1(VALU_DEP_3)
	v_add_co_u32 v7, vcc_lo, s10, v0
	v_add_co_ci_u32_e32 v8, vcc_lo, s11, v6, vcc_lo
	s_add_i32 s26, s26, -1
	s_delay_alu instid0(SALU_CYCLE_1)
	s_cmp_eq_u32 s26, 0
	global_load_b64 v[7:8], v[7:8], off
	s_waitcnt vmcnt(0)
	v_mul_f64 v[4:5], v[4:5], v[7:8]
	v_add_co_u32 v7, vcc_lo, s8, v0
	v_add_co_ci_u32_e32 v8, vcc_lo, s9, v6, vcc_lo
	v_add_co_u32 v0, vcc_lo, v0, s18
	v_add_co_ci_u32_e32 v6, vcc_lo, s19, v6, vcc_lo
	global_store_b64 v[7:8], v[4:5], off
	s_cbranch_scc0 .LBB52_8
	s_branch .LBB52_5
.LBB52_9:
	s_set_inst_prefetch_distance 0x2
	s_nop 0
	s_sendmsg sendmsg(MSG_DEALLOC_VGPRS)
	s_endpgm
	.section	.rodata,"a",@progbits
	.p2align	6, 0x0
	.amdhsa_kernel _ZN2at6native28tensor_kernel_scan_outer_dimIdjSt10multipliesIdEEEvPT_PKS4_jjjS4_T1_
		.amdhsa_group_segment_fixed_size 0
		.amdhsa_private_segment_fixed_size 0
		.amdhsa_kernarg_size 304
		.amdhsa_user_sgpr_count 14
		.amdhsa_user_sgpr_dispatch_ptr 0
		.amdhsa_user_sgpr_queue_ptr 0
		.amdhsa_user_sgpr_kernarg_segment_ptr 1
		.amdhsa_user_sgpr_dispatch_id 0
		.amdhsa_user_sgpr_private_segment_size 0
		.amdhsa_wavefront_size32 1
		.amdhsa_uses_dynamic_stack 0
		.amdhsa_enable_private_segment 0
		.amdhsa_system_sgpr_workgroup_id_x 1
		.amdhsa_system_sgpr_workgroup_id_y 1
		.amdhsa_system_sgpr_workgroup_id_z 0
		.amdhsa_system_sgpr_workgroup_info 0
		.amdhsa_system_vgpr_workitem_id 0
		.amdhsa_next_free_vgpr 9
		.amdhsa_next_free_sgpr 27
		.amdhsa_reserve_vcc 1
		.amdhsa_float_round_mode_32 0
		.amdhsa_float_round_mode_16_64 0
		.amdhsa_float_denorm_mode_32 3
		.amdhsa_float_denorm_mode_16_64 3
		.amdhsa_dx10_clamp 1
		.amdhsa_ieee_mode 1
		.amdhsa_fp16_overflow 0
		.amdhsa_workgroup_processor_mode 1
		.amdhsa_memory_ordered 1
		.amdhsa_forward_progress 0
		.amdhsa_shared_vgpr_count 0
		.amdhsa_exception_fp_ieee_invalid_op 0
		.amdhsa_exception_fp_denorm_src 0
		.amdhsa_exception_fp_ieee_div_zero 0
		.amdhsa_exception_fp_ieee_overflow 0
		.amdhsa_exception_fp_ieee_underflow 0
		.amdhsa_exception_fp_ieee_inexact 0
		.amdhsa_exception_int_div_zero 0
	.end_amdhsa_kernel
	.section	.text._ZN2at6native28tensor_kernel_scan_outer_dimIdjSt10multipliesIdEEEvPT_PKS4_jjjS4_T1_,"axG",@progbits,_ZN2at6native28tensor_kernel_scan_outer_dimIdjSt10multipliesIdEEEvPT_PKS4_jjjS4_T1_,comdat
.Lfunc_end52:
	.size	_ZN2at6native28tensor_kernel_scan_outer_dimIdjSt10multipliesIdEEEvPT_PKS4_jjjS4_T1_, .Lfunc_end52-_ZN2at6native28tensor_kernel_scan_outer_dimIdjSt10multipliesIdEEEvPT_PKS4_jjjS4_T1_
                                        ; -- End function
	.section	.AMDGPU.csdata,"",@progbits
; Kernel info:
; codeLenInByte = 384
; NumSgprs: 29
; NumVgprs: 9
; ScratchSize: 0
; MemoryBound: 0
; FloatMode: 240
; IeeeMode: 1
; LDSByteSize: 0 bytes/workgroup (compile time only)
; SGPRBlocks: 3
; VGPRBlocks: 1
; NumSGPRsForWavesPerEU: 29
; NumVGPRsForWavesPerEU: 9
; Occupancy: 16
; WaveLimiterHint : 0
; COMPUTE_PGM_RSRC2:SCRATCH_EN: 0
; COMPUTE_PGM_RSRC2:USER_SGPR: 14
; COMPUTE_PGM_RSRC2:TRAP_HANDLER: 0
; COMPUTE_PGM_RSRC2:TGID_X_EN: 1
; COMPUTE_PGM_RSRC2:TGID_Y_EN: 1
; COMPUTE_PGM_RSRC2:TGID_Z_EN: 0
; COMPUTE_PGM_RSRC2:TIDIG_COMP_CNT: 0
	.section	.text._ZN2at6native28tensor_kernel_scan_outer_dimIdmSt10multipliesIdEEEvPT_PKS4_jjjS4_T1_,"axG",@progbits,_ZN2at6native28tensor_kernel_scan_outer_dimIdmSt10multipliesIdEEEvPT_PKS4_jjjS4_T1_,comdat
	.protected	_ZN2at6native28tensor_kernel_scan_outer_dimIdmSt10multipliesIdEEEvPT_PKS4_jjjS4_T1_ ; -- Begin function _ZN2at6native28tensor_kernel_scan_outer_dimIdmSt10multipliesIdEEEvPT_PKS4_jjjS4_T1_
	.globl	_ZN2at6native28tensor_kernel_scan_outer_dimIdmSt10multipliesIdEEEvPT_PKS4_jjjS4_T1_
	.p2align	8
	.type	_ZN2at6native28tensor_kernel_scan_outer_dimIdmSt10multipliesIdEEEvPT_PKS4_jjjS4_T1_,@function
_ZN2at6native28tensor_kernel_scan_outer_dimIdmSt10multipliesIdEEEvPT_PKS4_jjjS4_T1_: ; @_ZN2at6native28tensor_kernel_scan_outer_dimIdmSt10multipliesIdEEEvPT_PKS4_jjjS4_T1_
; %bb.0:
	s_load_b128 s[4:7], s[0:1], 0x10
	s_waitcnt lgkmcnt(0)
	s_cmp_ge_u32 s14, s4
	s_cbranch_scc1 .LBB53_9
; %bb.1:
	s_clause 0x3
	s_load_b32 s16, s[0:1], 0x3c
	s_load_b32 s7, s[0:1], 0x30
	s_load_b128 s[8:11], s[0:1], 0x0
	s_load_b64 s[2:3], s[0:1], 0x20
	s_add_u32 s12, s0, 48
	s_addc_u32 s13, s1, 0
	v_mov_b32_e32 v3, 0
	s_mov_b32 s19, 0
	s_mul_hi_u32 s17, s6, s5
	s_mov_b32 s18, s5
	s_waitcnt lgkmcnt(0)
	s_and_b32 s1, s16, 0xffff
	s_cmp_lg_u32 s6, 0
	v_mad_u64_u32 v[1:2], null, s15, s1, v[0:1]
	s_mul_i32 s16, s6, s5
	s_cselect_b32 s15, -1, 0
	s_lshl_b64 s[16:17], s[16:17], 3
	s_lshl_b64 s[18:19], s[18:19], 3
	s_delay_alu instid0(VALU_DEP_1)
	v_cmp_gt_u32_e64 s0, s5, v1
	s_branch .LBB53_3
.LBB53_2:                               ;   in Loop: Header=BB53_3 Depth=1
	s_set_inst_prefetch_distance 0x2
	s_or_b32 exec_lo, exec_lo, s20
	s_add_i32 s14, s14, s7
	s_delay_alu instid0(SALU_CYCLE_1)
	s_cmp_ge_u32 s14, s4
	s_cbranch_scc1 .LBB53_9
.LBB53_3:                               ; =>This Loop Header: Depth=1
                                        ;     Child Loop BB53_6 Depth 2
                                        ;       Child Loop BB53_8 Depth 3
	s_delay_alu instid0(VALU_DEP_1)
	s_and_saveexec_b32 s20, s0
	s_cbranch_execz .LBB53_2
; %bb.4:                                ;   in Loop: Header=BB53_3 Depth=1
	s_load_b32 s23, s[12:13], 0x4
	v_mov_b32_e32 v2, v1
	s_mul_i32 s22, s17, s14
	s_mul_hi_u32 s24, s16, s14
	s_mul_i32 s21, s16, s14
	s_add_i32 s22, s24, s22
	s_mov_b32 s24, 0
	s_waitcnt lgkmcnt(0)
	s_mul_i32 s23, s23, s1
	s_set_inst_prefetch_distance 0x1
	s_branch .LBB53_6
	.p2align	6
.LBB53_5:                               ;   in Loop: Header=BB53_6 Depth=2
	v_add_nc_u32_e32 v2, s23, v2
	s_delay_alu instid0(VALU_DEP_1) | instskip(SKIP_1) | instid1(SALU_CYCLE_1)
	v_cmp_le_u32_e32 vcc_lo, s5, v2
	s_or_b32 s24, vcc_lo, s24
	s_and_not1_b32 exec_lo, exec_lo, s24
	s_cbranch_execz .LBB53_2
.LBB53_6:                               ;   Parent Loop BB53_3 Depth=1
                                        ; =>  This Loop Header: Depth=2
                                        ;       Child Loop BB53_8 Depth 3
	s_and_not1_b32 vcc_lo, exec_lo, s15
	s_cbranch_vccnz .LBB53_5
; %bb.7:                                ;   in Loop: Header=BB53_6 Depth=2
	v_lshlrev_b64 v[4:5], 3, v[2:3]
	s_mov_b32 s25, s6
	s_delay_alu instid0(VALU_DEP_1) | instskip(NEXT) | instid1(VALU_DEP_2)
	v_add_co_u32 v0, vcc_lo, s21, v4
	v_add_co_ci_u32_e32 v6, vcc_lo, s22, v5, vcc_lo
	v_dual_mov_b32 v5, s3 :: v_dual_mov_b32 v4, s2
	.p2align	6
.LBB53_8:                               ;   Parent Loop BB53_3 Depth=1
                                        ;     Parent Loop BB53_6 Depth=2
                                        ; =>    This Inner Loop Header: Depth=3
	s_delay_alu instid0(VALU_DEP_3) | instskip(NEXT) | instid1(VALU_DEP_3)
	v_add_co_u32 v7, vcc_lo, s10, v0
	v_add_co_ci_u32_e32 v8, vcc_lo, s11, v6, vcc_lo
	s_add_i32 s25, s25, -1
	s_delay_alu instid0(SALU_CYCLE_1)
	s_cmp_eq_u32 s25, 0
	global_load_b64 v[7:8], v[7:8], off
	s_waitcnt vmcnt(0)
	v_mul_f64 v[4:5], v[4:5], v[7:8]
	v_add_co_u32 v7, vcc_lo, s8, v0
	v_add_co_ci_u32_e32 v8, vcc_lo, s9, v6, vcc_lo
	v_add_co_u32 v0, vcc_lo, v0, s18
	v_add_co_ci_u32_e32 v6, vcc_lo, s19, v6, vcc_lo
	global_store_b64 v[7:8], v[4:5], off
	s_cbranch_scc0 .LBB53_8
	s_branch .LBB53_5
.LBB53_9:
	s_nop 0
	s_sendmsg sendmsg(MSG_DEALLOC_VGPRS)
	s_endpgm
	.section	.rodata,"a",@progbits
	.p2align	6, 0x0
	.amdhsa_kernel _ZN2at6native28tensor_kernel_scan_outer_dimIdmSt10multipliesIdEEEvPT_PKS4_jjjS4_T1_
		.amdhsa_group_segment_fixed_size 0
		.amdhsa_private_segment_fixed_size 0
		.amdhsa_kernarg_size 304
		.amdhsa_user_sgpr_count 14
		.amdhsa_user_sgpr_dispatch_ptr 0
		.amdhsa_user_sgpr_queue_ptr 0
		.amdhsa_user_sgpr_kernarg_segment_ptr 1
		.amdhsa_user_sgpr_dispatch_id 0
		.amdhsa_user_sgpr_private_segment_size 0
		.amdhsa_wavefront_size32 1
		.amdhsa_uses_dynamic_stack 0
		.amdhsa_enable_private_segment 0
		.amdhsa_system_sgpr_workgroup_id_x 1
		.amdhsa_system_sgpr_workgroup_id_y 1
		.amdhsa_system_sgpr_workgroup_id_z 0
		.amdhsa_system_sgpr_workgroup_info 0
		.amdhsa_system_vgpr_workitem_id 0
		.amdhsa_next_free_vgpr 9
		.amdhsa_next_free_sgpr 26
		.amdhsa_reserve_vcc 1
		.amdhsa_float_round_mode_32 0
		.amdhsa_float_round_mode_16_64 0
		.amdhsa_float_denorm_mode_32 3
		.amdhsa_float_denorm_mode_16_64 3
		.amdhsa_dx10_clamp 1
		.amdhsa_ieee_mode 1
		.amdhsa_fp16_overflow 0
		.amdhsa_workgroup_processor_mode 1
		.amdhsa_memory_ordered 1
		.amdhsa_forward_progress 0
		.amdhsa_shared_vgpr_count 0
		.amdhsa_exception_fp_ieee_invalid_op 0
		.amdhsa_exception_fp_denorm_src 0
		.amdhsa_exception_fp_ieee_div_zero 0
		.amdhsa_exception_fp_ieee_overflow 0
		.amdhsa_exception_fp_ieee_underflow 0
		.amdhsa_exception_fp_ieee_inexact 0
		.amdhsa_exception_int_div_zero 0
	.end_amdhsa_kernel
	.section	.text._ZN2at6native28tensor_kernel_scan_outer_dimIdmSt10multipliesIdEEEvPT_PKS4_jjjS4_T1_,"axG",@progbits,_ZN2at6native28tensor_kernel_scan_outer_dimIdmSt10multipliesIdEEEvPT_PKS4_jjjS4_T1_,comdat
.Lfunc_end53:
	.size	_ZN2at6native28tensor_kernel_scan_outer_dimIdmSt10multipliesIdEEEvPT_PKS4_jjjS4_T1_, .Lfunc_end53-_ZN2at6native28tensor_kernel_scan_outer_dimIdmSt10multipliesIdEEEvPT_PKS4_jjjS4_T1_
                                        ; -- End function
	.section	.AMDGPU.csdata,"",@progbits
; Kernel info:
; codeLenInByte = 388
; NumSgprs: 28
; NumVgprs: 9
; ScratchSize: 0
; MemoryBound: 0
; FloatMode: 240
; IeeeMode: 1
; LDSByteSize: 0 bytes/workgroup (compile time only)
; SGPRBlocks: 3
; VGPRBlocks: 1
; NumSGPRsForWavesPerEU: 28
; NumVGPRsForWavesPerEU: 9
; Occupancy: 16
; WaveLimiterHint : 0
; COMPUTE_PGM_RSRC2:SCRATCH_EN: 0
; COMPUTE_PGM_RSRC2:USER_SGPR: 14
; COMPUTE_PGM_RSRC2:TRAP_HANDLER: 0
; COMPUTE_PGM_RSRC2:TGID_X_EN: 1
; COMPUTE_PGM_RSRC2:TGID_Y_EN: 1
; COMPUTE_PGM_RSRC2:TGID_Z_EN: 0
; COMPUTE_PGM_RSRC2:TIDIG_COMP_CNT: 0
	.section	.text._ZN7rocprim17ROCPRIM_304000_NS6detail31init_lookback_scan_state_kernelINS1_19lookback_scan_stateIfLb1ELb1EEEEEvT_jjPNS5_10value_typeE,"axG",@progbits,_ZN7rocprim17ROCPRIM_304000_NS6detail31init_lookback_scan_state_kernelINS1_19lookback_scan_stateIfLb1ELb1EEEEEvT_jjPNS5_10value_typeE,comdat
	.protected	_ZN7rocprim17ROCPRIM_304000_NS6detail31init_lookback_scan_state_kernelINS1_19lookback_scan_stateIfLb1ELb1EEEEEvT_jjPNS5_10value_typeE ; -- Begin function _ZN7rocprim17ROCPRIM_304000_NS6detail31init_lookback_scan_state_kernelINS1_19lookback_scan_stateIfLb1ELb1EEEEEvT_jjPNS5_10value_typeE
	.globl	_ZN7rocprim17ROCPRIM_304000_NS6detail31init_lookback_scan_state_kernelINS1_19lookback_scan_stateIfLb1ELb1EEEEEvT_jjPNS5_10value_typeE
	.p2align	8
	.type	_ZN7rocprim17ROCPRIM_304000_NS6detail31init_lookback_scan_state_kernelINS1_19lookback_scan_stateIfLb1ELb1EEEEEvT_jjPNS5_10value_typeE,@function
_ZN7rocprim17ROCPRIM_304000_NS6detail31init_lookback_scan_state_kernelINS1_19lookback_scan_stateIfLb1ELb1EEEEEvT_jjPNS5_10value_typeE: ; @_ZN7rocprim17ROCPRIM_304000_NS6detail31init_lookback_scan_state_kernelINS1_19lookback_scan_stateIfLb1ELb1EEEEEvT_jjPNS5_10value_typeE
; %bb.0:
	s_clause 0x2
	s_load_b32 s6, s[0:1], 0x24
	s_load_b64 s[4:5], s[0:1], 0x10
	s_load_b128 s[0:3], s[0:1], 0x0
	s_waitcnt lgkmcnt(0)
	s_and_b32 s6, s6, 0xffff
	s_cmp_eq_u64 s[4:5], 0
	v_mad_u64_u32 v[1:2], null, s15, s6, v[0:1]
	s_cbranch_scc1 .LBB54_9
; %bb.1:
	s_cmp_lt_u32 s3, s2
	s_mov_b32 s7, 0
	s_cselect_b32 s6, s3, 0
	s_mov_b32 s8, exec_lo
	s_delay_alu instid0(VALU_DEP_1)
	v_cmpx_eq_u32_e64 s6, v1
	s_cbranch_execz .LBB54_8
; %bb.2:
	s_add_i32 s6, s3, 32
	v_mov_b32_e32 v2, 0
	s_lshl_b64 s[6:7], s[6:7], 3
	s_delay_alu instid0(SALU_CYCLE_1) | instskip(SKIP_4) | instid1(VALU_DEP_1)
	s_add_u32 s6, s0, s6
	s_addc_u32 s7, s1, s7
	global_load_b64 v[4:5], v2, s[6:7] glc
	s_waitcnt vmcnt(0)
	v_and_b32_e32 v3, 0xff, v5
	v_cmp_ne_u64_e32 vcc_lo, 0, v[2:3]
	s_cbranch_vccnz .LBB54_7
; %bb.3:
	s_mov_b32 s3, 1
.LBB54_4:                               ; =>This Loop Header: Depth=1
                                        ;     Child Loop BB54_5 Depth 2
	s_delay_alu instid0(SALU_CYCLE_1)
	s_max_u32 s9, s3, 1
.LBB54_5:                               ;   Parent Loop BB54_4 Depth=1
                                        ; =>  This Inner Loop Header: Depth=2
	s_delay_alu instid0(SALU_CYCLE_1)
	s_add_i32 s9, s9, -1
	s_sleep 1
	s_cmp_eq_u32 s9, 0
	s_cbranch_scc0 .LBB54_5
; %bb.6:                                ;   in Loop: Header=BB54_4 Depth=1
	global_load_b64 v[4:5], v2, s[6:7] glc
	s_cmp_lt_u32 s3, 32
	s_cselect_b32 s9, -1, 0
	s_delay_alu instid0(SALU_CYCLE_1) | instskip(SKIP_3) | instid1(VALU_DEP_1)
	s_cmp_lg_u32 s9, 0
	s_addc_u32 s3, s3, 0
	s_waitcnt vmcnt(0)
	v_and_b32_e32 v3, 0xff, v5
	v_cmp_ne_u64_e32 vcc_lo, 0, v[2:3]
	s_cbranch_vccz .LBB54_4
.LBB54_7:
	v_mov_b32_e32 v0, 0
	global_store_b32 v0, v4, s[4:5]
.LBB54_8:
	s_or_b32 exec_lo, exec_lo, s8
.LBB54_9:
	s_delay_alu instid0(VALU_DEP_1)
	v_cmp_gt_u32_e32 vcc_lo, s2, v1
	s_and_saveexec_b32 s2, vcc_lo
	s_cbranch_execz .LBB54_11
; %bb.10:
	v_dual_mov_b32 v3, 0 :: v_dual_add_nc_u32 v2, 32, v1
	s_delay_alu instid0(VALU_DEP_1) | instskip(SKIP_1) | instid1(VALU_DEP_2)
	v_lshlrev_b64 v[4:5], 3, v[2:3]
	v_mov_b32_e32 v2, v3
	v_add_co_u32 v4, vcc_lo, s0, v4
	s_delay_alu instid0(VALU_DEP_3)
	v_add_co_ci_u32_e32 v5, vcc_lo, s1, v5, vcc_lo
	global_store_b64 v[4:5], v[2:3], off
.LBB54_11:
	s_or_b32 exec_lo, exec_lo, s2
	s_delay_alu instid0(SALU_CYCLE_1)
	s_mov_b32 s2, exec_lo
	v_cmpx_gt_u32_e32 32, v1
	s_cbranch_execz .LBB54_13
; %bb.12:
	v_dual_mov_b32 v2, 0 :: v_dual_mov_b32 v3, 0xff
	s_delay_alu instid0(VALU_DEP_1) | instskip(NEXT) | instid1(VALU_DEP_1)
	v_lshlrev_b64 v[0:1], 3, v[1:2]
	v_add_co_u32 v0, vcc_lo, s0, v0
	s_delay_alu instid0(VALU_DEP_2)
	v_add_co_ci_u32_e32 v1, vcc_lo, s1, v1, vcc_lo
	global_store_b64 v[0:1], v[2:3], off
.LBB54_13:
	s_nop 0
	s_sendmsg sendmsg(MSG_DEALLOC_VGPRS)
	s_endpgm
	.section	.rodata,"a",@progbits
	.p2align	6, 0x0
	.amdhsa_kernel _ZN7rocprim17ROCPRIM_304000_NS6detail31init_lookback_scan_state_kernelINS1_19lookback_scan_stateIfLb1ELb1EEEEEvT_jjPNS5_10value_typeE
		.amdhsa_group_segment_fixed_size 0
		.amdhsa_private_segment_fixed_size 0
		.amdhsa_kernarg_size 280
		.amdhsa_user_sgpr_count 15
		.amdhsa_user_sgpr_dispatch_ptr 0
		.amdhsa_user_sgpr_queue_ptr 0
		.amdhsa_user_sgpr_kernarg_segment_ptr 1
		.amdhsa_user_sgpr_dispatch_id 0
		.amdhsa_user_sgpr_private_segment_size 0
		.amdhsa_wavefront_size32 1
		.amdhsa_uses_dynamic_stack 0
		.amdhsa_enable_private_segment 0
		.amdhsa_system_sgpr_workgroup_id_x 1
		.amdhsa_system_sgpr_workgroup_id_y 0
		.amdhsa_system_sgpr_workgroup_id_z 0
		.amdhsa_system_sgpr_workgroup_info 0
		.amdhsa_system_vgpr_workitem_id 0
		.amdhsa_next_free_vgpr 6
		.amdhsa_next_free_sgpr 16
		.amdhsa_reserve_vcc 1
		.amdhsa_float_round_mode_32 0
		.amdhsa_float_round_mode_16_64 0
		.amdhsa_float_denorm_mode_32 3
		.amdhsa_float_denorm_mode_16_64 3
		.amdhsa_dx10_clamp 1
		.amdhsa_ieee_mode 1
		.amdhsa_fp16_overflow 0
		.amdhsa_workgroup_processor_mode 1
		.amdhsa_memory_ordered 1
		.amdhsa_forward_progress 0
		.amdhsa_shared_vgpr_count 0
		.amdhsa_exception_fp_ieee_invalid_op 0
		.amdhsa_exception_fp_denorm_src 0
		.amdhsa_exception_fp_ieee_div_zero 0
		.amdhsa_exception_fp_ieee_overflow 0
		.amdhsa_exception_fp_ieee_underflow 0
		.amdhsa_exception_fp_ieee_inexact 0
		.amdhsa_exception_int_div_zero 0
	.end_amdhsa_kernel
	.section	.text._ZN7rocprim17ROCPRIM_304000_NS6detail31init_lookback_scan_state_kernelINS1_19lookback_scan_stateIfLb1ELb1EEEEEvT_jjPNS5_10value_typeE,"axG",@progbits,_ZN7rocprim17ROCPRIM_304000_NS6detail31init_lookback_scan_state_kernelINS1_19lookback_scan_stateIfLb1ELb1EEEEEvT_jjPNS5_10value_typeE,comdat
.Lfunc_end54:
	.size	_ZN7rocprim17ROCPRIM_304000_NS6detail31init_lookback_scan_state_kernelINS1_19lookback_scan_stateIfLb1ELb1EEEEEvT_jjPNS5_10value_typeE, .Lfunc_end54-_ZN7rocprim17ROCPRIM_304000_NS6detail31init_lookback_scan_state_kernelINS1_19lookback_scan_stateIfLb1ELb1EEEEEvT_jjPNS5_10value_typeE
                                        ; -- End function
	.section	.AMDGPU.csdata,"",@progbits
; Kernel info:
; codeLenInByte = 380
; NumSgprs: 18
; NumVgprs: 6
; ScratchSize: 0
; MemoryBound: 0
; FloatMode: 240
; IeeeMode: 1
; LDSByteSize: 0 bytes/workgroup (compile time only)
; SGPRBlocks: 2
; VGPRBlocks: 0
; NumSGPRsForWavesPerEU: 18
; NumVGPRsForWavesPerEU: 6
; Occupancy: 16
; WaveLimiterHint : 0
; COMPUTE_PGM_RSRC2:SCRATCH_EN: 0
; COMPUTE_PGM_RSRC2:USER_SGPR: 15
; COMPUTE_PGM_RSRC2:TRAP_HANDLER: 0
; COMPUTE_PGM_RSRC2:TGID_X_EN: 1
; COMPUTE_PGM_RSRC2:TGID_Y_EN: 0
; COMPUTE_PGM_RSRC2:TGID_Z_EN: 0
; COMPUTE_PGM_RSRC2:TIDIG_COMP_CNT: 0
	.section	.text._ZN7rocprim17ROCPRIM_304000_NS6detail31init_lookback_scan_state_kernelINS1_19lookback_scan_stateIfLb0ELb1EEEEEvT_jjPNS5_10value_typeE,"axG",@progbits,_ZN7rocprim17ROCPRIM_304000_NS6detail31init_lookback_scan_state_kernelINS1_19lookback_scan_stateIfLb0ELb1EEEEEvT_jjPNS5_10value_typeE,comdat
	.protected	_ZN7rocprim17ROCPRIM_304000_NS6detail31init_lookback_scan_state_kernelINS1_19lookback_scan_stateIfLb0ELb1EEEEEvT_jjPNS5_10value_typeE ; -- Begin function _ZN7rocprim17ROCPRIM_304000_NS6detail31init_lookback_scan_state_kernelINS1_19lookback_scan_stateIfLb0ELb1EEEEEvT_jjPNS5_10value_typeE
	.globl	_ZN7rocprim17ROCPRIM_304000_NS6detail31init_lookback_scan_state_kernelINS1_19lookback_scan_stateIfLb0ELb1EEEEEvT_jjPNS5_10value_typeE
	.p2align	8
	.type	_ZN7rocprim17ROCPRIM_304000_NS6detail31init_lookback_scan_state_kernelINS1_19lookback_scan_stateIfLb0ELb1EEEEEvT_jjPNS5_10value_typeE,@function
_ZN7rocprim17ROCPRIM_304000_NS6detail31init_lookback_scan_state_kernelINS1_19lookback_scan_stateIfLb0ELb1EEEEEvT_jjPNS5_10value_typeE: ; @_ZN7rocprim17ROCPRIM_304000_NS6detail31init_lookback_scan_state_kernelINS1_19lookback_scan_stateIfLb0ELb1EEEEEvT_jjPNS5_10value_typeE
; %bb.0:
	s_clause 0x2
	s_load_b32 s6, s[0:1], 0x24
	s_load_b64 s[4:5], s[0:1], 0x10
	s_load_b128 s[0:3], s[0:1], 0x0
	s_waitcnt lgkmcnt(0)
	s_and_b32 s6, s6, 0xffff
	s_cmp_eq_u64 s[4:5], 0
	v_mad_u64_u32 v[1:2], null, s15, s6, v[0:1]
	s_cbranch_scc1 .LBB55_6
; %bb.1:
	s_cmp_lt_u32 s3, s2
	s_mov_b32 s7, 0
	s_cselect_b32 s6, s3, 0
	s_mov_b32 s8, exec_lo
	s_delay_alu instid0(VALU_DEP_1)
	v_cmpx_eq_u32_e64 s6, v1
	s_cbranch_execz .LBB55_5
; %bb.2:
	s_add_i32 s6, s3, 32
	v_mov_b32_e32 v4, 0
	s_lshl_b64 s[6:7], s[6:7], 3
	s_delay_alu instid0(SALU_CYCLE_1) | instskip(SKIP_4) | instid1(VALU_DEP_1)
	s_add_u32 s6, s0, s6
	s_addc_u32 s7, s1, s7
	global_load_b64 v[2:3], v4, s[6:7] glc
	s_waitcnt vmcnt(0)
	v_and_b32_e32 v5, 0xff, v3
	v_cmp_ne_u64_e32 vcc_lo, 0, v[4:5]
	s_cbranch_vccnz .LBB55_4
.LBB55_3:                               ; =>This Inner Loop Header: Depth=1
	global_load_b64 v[2:3], v4, s[6:7] glc
	s_waitcnt vmcnt(0)
	v_and_b32_e32 v5, 0xff, v3
	s_delay_alu instid0(VALU_DEP_1)
	v_cmp_eq_u64_e32 vcc_lo, 0, v[4:5]
	s_cbranch_vccnz .LBB55_3
.LBB55_4:
	v_mov_b32_e32 v0, 0
	global_store_b32 v0, v2, s[4:5]
.LBB55_5:
	s_or_b32 exec_lo, exec_lo, s8
.LBB55_6:
	s_delay_alu instid0(VALU_DEP_1)
	v_cmp_gt_u32_e32 vcc_lo, s2, v1
	s_and_saveexec_b32 s2, vcc_lo
	s_cbranch_execz .LBB55_8
; %bb.7:
	v_dual_mov_b32 v3, 0 :: v_dual_add_nc_u32 v2, 32, v1
	s_delay_alu instid0(VALU_DEP_1) | instskip(SKIP_1) | instid1(VALU_DEP_2)
	v_lshlrev_b64 v[4:5], 3, v[2:3]
	v_mov_b32_e32 v2, v3
	v_add_co_u32 v4, vcc_lo, s0, v4
	s_delay_alu instid0(VALU_DEP_3)
	v_add_co_ci_u32_e32 v5, vcc_lo, s1, v5, vcc_lo
	global_store_b64 v[4:5], v[2:3], off
.LBB55_8:
	s_or_b32 exec_lo, exec_lo, s2
	s_delay_alu instid0(SALU_CYCLE_1)
	s_mov_b32 s2, exec_lo
	v_cmpx_gt_u32_e32 32, v1
	s_cbranch_execz .LBB55_10
; %bb.9:
	v_dual_mov_b32 v2, 0 :: v_dual_mov_b32 v3, 0xff
	s_delay_alu instid0(VALU_DEP_1) | instskip(NEXT) | instid1(VALU_DEP_1)
	v_lshlrev_b64 v[0:1], 3, v[1:2]
	v_add_co_u32 v0, vcc_lo, s0, v0
	s_delay_alu instid0(VALU_DEP_2)
	v_add_co_ci_u32_e32 v1, vcc_lo, s1, v1, vcc_lo
	global_store_b64 v[0:1], v[2:3], off
.LBB55_10:
	s_nop 0
	s_sendmsg sendmsg(MSG_DEALLOC_VGPRS)
	s_endpgm
	.section	.rodata,"a",@progbits
	.p2align	6, 0x0
	.amdhsa_kernel _ZN7rocprim17ROCPRIM_304000_NS6detail31init_lookback_scan_state_kernelINS1_19lookback_scan_stateIfLb0ELb1EEEEEvT_jjPNS5_10value_typeE
		.amdhsa_group_segment_fixed_size 0
		.amdhsa_private_segment_fixed_size 0
		.amdhsa_kernarg_size 280
		.amdhsa_user_sgpr_count 15
		.amdhsa_user_sgpr_dispatch_ptr 0
		.amdhsa_user_sgpr_queue_ptr 0
		.amdhsa_user_sgpr_kernarg_segment_ptr 1
		.amdhsa_user_sgpr_dispatch_id 0
		.amdhsa_user_sgpr_private_segment_size 0
		.amdhsa_wavefront_size32 1
		.amdhsa_uses_dynamic_stack 0
		.amdhsa_enable_private_segment 0
		.amdhsa_system_sgpr_workgroup_id_x 1
		.amdhsa_system_sgpr_workgroup_id_y 0
		.amdhsa_system_sgpr_workgroup_id_z 0
		.amdhsa_system_sgpr_workgroup_info 0
		.amdhsa_system_vgpr_workitem_id 0
		.amdhsa_next_free_vgpr 6
		.amdhsa_next_free_sgpr 16
		.amdhsa_reserve_vcc 1
		.amdhsa_float_round_mode_32 0
		.amdhsa_float_round_mode_16_64 0
		.amdhsa_float_denorm_mode_32 3
		.amdhsa_float_denorm_mode_16_64 3
		.amdhsa_dx10_clamp 1
		.amdhsa_ieee_mode 1
		.amdhsa_fp16_overflow 0
		.amdhsa_workgroup_processor_mode 1
		.amdhsa_memory_ordered 1
		.amdhsa_forward_progress 0
		.amdhsa_shared_vgpr_count 0
		.amdhsa_exception_fp_ieee_invalid_op 0
		.amdhsa_exception_fp_denorm_src 0
		.amdhsa_exception_fp_ieee_div_zero 0
		.amdhsa_exception_fp_ieee_overflow 0
		.amdhsa_exception_fp_ieee_underflow 0
		.amdhsa_exception_fp_ieee_inexact 0
		.amdhsa_exception_int_div_zero 0
	.end_amdhsa_kernel
	.section	.text._ZN7rocprim17ROCPRIM_304000_NS6detail31init_lookback_scan_state_kernelINS1_19lookback_scan_stateIfLb0ELb1EEEEEvT_jjPNS5_10value_typeE,"axG",@progbits,_ZN7rocprim17ROCPRIM_304000_NS6detail31init_lookback_scan_state_kernelINS1_19lookback_scan_stateIfLb0ELb1EEEEEvT_jjPNS5_10value_typeE,comdat
.Lfunc_end55:
	.size	_ZN7rocprim17ROCPRIM_304000_NS6detail31init_lookback_scan_state_kernelINS1_19lookback_scan_stateIfLb0ELb1EEEEEvT_jjPNS5_10value_typeE, .Lfunc_end55-_ZN7rocprim17ROCPRIM_304000_NS6detail31init_lookback_scan_state_kernelINS1_19lookback_scan_stateIfLb0ELb1EEEEEvT_jjPNS5_10value_typeE
                                        ; -- End function
	.section	.AMDGPU.csdata,"",@progbits
; Kernel info:
; codeLenInByte = 332
; NumSgprs: 18
; NumVgprs: 6
; ScratchSize: 0
; MemoryBound: 0
; FloatMode: 240
; IeeeMode: 1
; LDSByteSize: 0 bytes/workgroup (compile time only)
; SGPRBlocks: 2
; VGPRBlocks: 0
; NumSGPRsForWavesPerEU: 18
; NumVGPRsForWavesPerEU: 6
; Occupancy: 16
; WaveLimiterHint : 0
; COMPUTE_PGM_RSRC2:SCRATCH_EN: 0
; COMPUTE_PGM_RSRC2:USER_SGPR: 15
; COMPUTE_PGM_RSRC2:TRAP_HANDLER: 0
; COMPUTE_PGM_RSRC2:TGID_X_EN: 1
; COMPUTE_PGM_RSRC2:TGID_Y_EN: 0
; COMPUTE_PGM_RSRC2:TGID_Z_EN: 0
; COMPUTE_PGM_RSRC2:TIDIG_COMP_CNT: 0
	.section	.text._ZN7rocprim17ROCPRIM_304000_NS6detail20lookback_scan_kernelILNS1_25lookback_scan_determinismE0ELb0ENS1_19wrapped_scan_configINS0_14default_configEfEEPKfPfSt10multipliesIfEffNS1_19lookback_scan_stateIfLb1ELb1EEEEEvT2_T3_mT5_T4_T7_jPT6_SK_bb,"axG",@progbits,_ZN7rocprim17ROCPRIM_304000_NS6detail20lookback_scan_kernelILNS1_25lookback_scan_determinismE0ELb0ENS1_19wrapped_scan_configINS0_14default_configEfEEPKfPfSt10multipliesIfEffNS1_19lookback_scan_stateIfLb1ELb1EEEEEvT2_T3_mT5_T4_T7_jPT6_SK_bb,comdat
	.protected	_ZN7rocprim17ROCPRIM_304000_NS6detail20lookback_scan_kernelILNS1_25lookback_scan_determinismE0ELb0ENS1_19wrapped_scan_configINS0_14default_configEfEEPKfPfSt10multipliesIfEffNS1_19lookback_scan_stateIfLb1ELb1EEEEEvT2_T3_mT5_T4_T7_jPT6_SK_bb ; -- Begin function _ZN7rocprim17ROCPRIM_304000_NS6detail20lookback_scan_kernelILNS1_25lookback_scan_determinismE0ELb0ENS1_19wrapped_scan_configINS0_14default_configEfEEPKfPfSt10multipliesIfEffNS1_19lookback_scan_stateIfLb1ELb1EEEEEvT2_T3_mT5_T4_T7_jPT6_SK_bb
	.globl	_ZN7rocprim17ROCPRIM_304000_NS6detail20lookback_scan_kernelILNS1_25lookback_scan_determinismE0ELb0ENS1_19wrapped_scan_configINS0_14default_configEfEEPKfPfSt10multipliesIfEffNS1_19lookback_scan_stateIfLb1ELb1EEEEEvT2_T3_mT5_T4_T7_jPT6_SK_bb
	.p2align	8
	.type	_ZN7rocprim17ROCPRIM_304000_NS6detail20lookback_scan_kernelILNS1_25lookback_scan_determinismE0ELb0ENS1_19wrapped_scan_configINS0_14default_configEfEEPKfPfSt10multipliesIfEffNS1_19lookback_scan_stateIfLb1ELb1EEEEEvT2_T3_mT5_T4_T7_jPT6_SK_bb,@function
_ZN7rocprim17ROCPRIM_304000_NS6detail20lookback_scan_kernelILNS1_25lookback_scan_determinismE0ELb0ENS1_19wrapped_scan_configINS0_14default_configEfEEPKfPfSt10multipliesIfEffNS1_19lookback_scan_stateIfLb1ELb1EEEEEvT2_T3_mT5_T4_T7_jPT6_SK_bb: ; @_ZN7rocprim17ROCPRIM_304000_NS6detail20lookback_scan_kernelILNS1_25lookback_scan_determinismE0ELb0ENS1_19wrapped_scan_configINS0_14default_configEfEEPKfPfSt10multipliesIfEffNS1_19lookback_scan_stateIfLb1ELb1EEEEEvT2_T3_mT5_T4_T7_jPT6_SK_bb
; %bb.0:
	s_endpgm
	.section	.rodata,"a",@progbits
	.p2align	6, 0x0
	.amdhsa_kernel _ZN7rocprim17ROCPRIM_304000_NS6detail20lookback_scan_kernelILNS1_25lookback_scan_determinismE0ELb0ENS1_19wrapped_scan_configINS0_14default_configEfEEPKfPfSt10multipliesIfEffNS1_19lookback_scan_stateIfLb1ELb1EEEEEvT2_T3_mT5_T4_T7_jPT6_SK_bb
		.amdhsa_group_segment_fixed_size 0
		.amdhsa_private_segment_fixed_size 0
		.amdhsa_kernarg_size 68
		.amdhsa_user_sgpr_count 15
		.amdhsa_user_sgpr_dispatch_ptr 0
		.amdhsa_user_sgpr_queue_ptr 0
		.amdhsa_user_sgpr_kernarg_segment_ptr 1
		.amdhsa_user_sgpr_dispatch_id 0
		.amdhsa_user_sgpr_private_segment_size 0
		.amdhsa_wavefront_size32 1
		.amdhsa_uses_dynamic_stack 0
		.amdhsa_enable_private_segment 0
		.amdhsa_system_sgpr_workgroup_id_x 1
		.amdhsa_system_sgpr_workgroup_id_y 0
		.amdhsa_system_sgpr_workgroup_id_z 0
		.amdhsa_system_sgpr_workgroup_info 0
		.amdhsa_system_vgpr_workitem_id 0
		.amdhsa_next_free_vgpr 1
		.amdhsa_next_free_sgpr 1
		.amdhsa_reserve_vcc 0
		.amdhsa_float_round_mode_32 0
		.amdhsa_float_round_mode_16_64 0
		.amdhsa_float_denorm_mode_32 3
		.amdhsa_float_denorm_mode_16_64 3
		.amdhsa_dx10_clamp 1
		.amdhsa_ieee_mode 1
		.amdhsa_fp16_overflow 0
		.amdhsa_workgroup_processor_mode 1
		.amdhsa_memory_ordered 1
		.amdhsa_forward_progress 0
		.amdhsa_shared_vgpr_count 0
		.amdhsa_exception_fp_ieee_invalid_op 0
		.amdhsa_exception_fp_denorm_src 0
		.amdhsa_exception_fp_ieee_div_zero 0
		.amdhsa_exception_fp_ieee_overflow 0
		.amdhsa_exception_fp_ieee_underflow 0
		.amdhsa_exception_fp_ieee_inexact 0
		.amdhsa_exception_int_div_zero 0
	.end_amdhsa_kernel
	.section	.text._ZN7rocprim17ROCPRIM_304000_NS6detail20lookback_scan_kernelILNS1_25lookback_scan_determinismE0ELb0ENS1_19wrapped_scan_configINS0_14default_configEfEEPKfPfSt10multipliesIfEffNS1_19lookback_scan_stateIfLb1ELb1EEEEEvT2_T3_mT5_T4_T7_jPT6_SK_bb,"axG",@progbits,_ZN7rocprim17ROCPRIM_304000_NS6detail20lookback_scan_kernelILNS1_25lookback_scan_determinismE0ELb0ENS1_19wrapped_scan_configINS0_14default_configEfEEPKfPfSt10multipliesIfEffNS1_19lookback_scan_stateIfLb1ELb1EEEEEvT2_T3_mT5_T4_T7_jPT6_SK_bb,comdat
.Lfunc_end56:
	.size	_ZN7rocprim17ROCPRIM_304000_NS6detail20lookback_scan_kernelILNS1_25lookback_scan_determinismE0ELb0ENS1_19wrapped_scan_configINS0_14default_configEfEEPKfPfSt10multipliesIfEffNS1_19lookback_scan_stateIfLb1ELb1EEEEEvT2_T3_mT5_T4_T7_jPT6_SK_bb, .Lfunc_end56-_ZN7rocprim17ROCPRIM_304000_NS6detail20lookback_scan_kernelILNS1_25lookback_scan_determinismE0ELb0ENS1_19wrapped_scan_configINS0_14default_configEfEEPKfPfSt10multipliesIfEffNS1_19lookback_scan_stateIfLb1ELb1EEEEEvT2_T3_mT5_T4_T7_jPT6_SK_bb
                                        ; -- End function
	.section	.AMDGPU.csdata,"",@progbits
; Kernel info:
; codeLenInByte = 4
; NumSgprs: 0
; NumVgprs: 0
; ScratchSize: 0
; MemoryBound: 0
; FloatMode: 240
; IeeeMode: 1
; LDSByteSize: 0 bytes/workgroup (compile time only)
; SGPRBlocks: 0
; VGPRBlocks: 0
; NumSGPRsForWavesPerEU: 1
; NumVGPRsForWavesPerEU: 1
; Occupancy: 16
; WaveLimiterHint : 0
; COMPUTE_PGM_RSRC2:SCRATCH_EN: 0
; COMPUTE_PGM_RSRC2:USER_SGPR: 15
; COMPUTE_PGM_RSRC2:TRAP_HANDLER: 0
; COMPUTE_PGM_RSRC2:TGID_X_EN: 1
; COMPUTE_PGM_RSRC2:TGID_Y_EN: 0
; COMPUTE_PGM_RSRC2:TGID_Z_EN: 0
; COMPUTE_PGM_RSRC2:TIDIG_COMP_CNT: 0
	.section	.text._ZN7rocprim17ROCPRIM_304000_NS6detail20lookback_scan_kernelILNS1_25lookback_scan_determinismE0ELb0ENS1_19wrapped_scan_configINS0_14default_configEfEEPKfPfSt10multipliesIfEffNS1_19lookback_scan_stateIfLb0ELb1EEEEEvT2_T3_mT5_T4_T7_jPT6_SK_bb,"axG",@progbits,_ZN7rocprim17ROCPRIM_304000_NS6detail20lookback_scan_kernelILNS1_25lookback_scan_determinismE0ELb0ENS1_19wrapped_scan_configINS0_14default_configEfEEPKfPfSt10multipliesIfEffNS1_19lookback_scan_stateIfLb0ELb1EEEEEvT2_T3_mT5_T4_T7_jPT6_SK_bb,comdat
	.protected	_ZN7rocprim17ROCPRIM_304000_NS6detail20lookback_scan_kernelILNS1_25lookback_scan_determinismE0ELb0ENS1_19wrapped_scan_configINS0_14default_configEfEEPKfPfSt10multipliesIfEffNS1_19lookback_scan_stateIfLb0ELb1EEEEEvT2_T3_mT5_T4_T7_jPT6_SK_bb ; -- Begin function _ZN7rocprim17ROCPRIM_304000_NS6detail20lookback_scan_kernelILNS1_25lookback_scan_determinismE0ELb0ENS1_19wrapped_scan_configINS0_14default_configEfEEPKfPfSt10multipliesIfEffNS1_19lookback_scan_stateIfLb0ELb1EEEEEvT2_T3_mT5_T4_T7_jPT6_SK_bb
	.globl	_ZN7rocprim17ROCPRIM_304000_NS6detail20lookback_scan_kernelILNS1_25lookback_scan_determinismE0ELb0ENS1_19wrapped_scan_configINS0_14default_configEfEEPKfPfSt10multipliesIfEffNS1_19lookback_scan_stateIfLb0ELb1EEEEEvT2_T3_mT5_T4_T7_jPT6_SK_bb
	.p2align	8
	.type	_ZN7rocprim17ROCPRIM_304000_NS6detail20lookback_scan_kernelILNS1_25lookback_scan_determinismE0ELb0ENS1_19wrapped_scan_configINS0_14default_configEfEEPKfPfSt10multipliesIfEffNS1_19lookback_scan_stateIfLb0ELb1EEEEEvT2_T3_mT5_T4_T7_jPT6_SK_bb,@function
_ZN7rocprim17ROCPRIM_304000_NS6detail20lookback_scan_kernelILNS1_25lookback_scan_determinismE0ELb0ENS1_19wrapped_scan_configINS0_14default_configEfEEPKfPfSt10multipliesIfEffNS1_19lookback_scan_stateIfLb0ELb1EEEEEvT2_T3_mT5_T4_T7_jPT6_SK_bb: ; @_ZN7rocprim17ROCPRIM_304000_NS6detail20lookback_scan_kernelILNS1_25lookback_scan_determinismE0ELb0ENS1_19wrapped_scan_configINS0_14default_configEfEEPKfPfSt10multipliesIfEffNS1_19lookback_scan_stateIfLb0ELb1EEEEEvT2_T3_mT5_T4_T7_jPT6_SK_bb
; %bb.0:
	s_clause 0x2
	s_load_b32 s10, s[0:1], 0x28
	s_load_b64 s[2:3], s[0:1], 0x10
	s_load_b128 s[4:7], s[0:1], 0x0
	s_lshl_b32 s8, s15, 10
	s_mov_b32 s9, 0
	v_lshlrev_b32_e32 v48, 2, v0
	v_lshrrev_b32_e32 v19, 3, v0
	v_or_b32_e32 v47, 64, v0
	v_or_b32_e32 v46, 0x80, v0
	;; [unrolled: 1-line block ×13, first 2 shown]
	s_waitcnt lgkmcnt(0)
	s_add_i32 s10, s10, -1
	v_or_b32_e32 v34, 0x380, v0
	s_lshl_b32 s11, s10, 10
	v_or_b32_e32 v33, 0x3c0, v0
	s_sub_u32 s14, s2, s11
	s_subb_u32 s33, s3, 0
	s_cmp_lg_u32 s15, s10
	s_mov_b32 s3, -1
	s_cselect_b32 s34, -1, 0
	s_lshl_b64 s[12:13], s[8:9], 2
	s_delay_alu instid0(SALU_CYCLE_1)
	s_add_u32 s4, s4, s12
	s_addc_u32 s5, s5, s13
	s_and_b32 vcc_lo, exec_lo, s34
	s_cbranch_vccz .LBB57_2
; %bb.1:
	s_clause 0xf
	global_load_b32 v1, v48, s[4:5]
	global_load_b32 v2, v48, s[4:5] offset:256
	global_load_b32 v3, v48, s[4:5] offset:512
	;; [unrolled: 1-line block ×15, first 2 shown]
	v_lshrrev_b32_e32 v18, 3, v47
	v_lshrrev_b32_e32 v20, 3, v46
	v_lshrrev_b32_e32 v21, 3, v45
	v_lshrrev_b32_e32 v22, 3, v44
	v_and_b32_e32 v17, 4, v19
	v_lshrrev_b32_e32 v23, 3, v43
	v_lshrrev_b32_e32 v24, 3, v42
	;; [unrolled: 1-line block ×11, first 2 shown]
	v_and_b32_e32 v18, 12, v18
	v_and_b32_e32 v20, 20, v20
	v_and_b32_e32 v21, 28, v21
	v_and_b32_e32 v22, 36, v22
	v_add_nc_u32_e32 v17, v17, v48
	v_and_b32_e32 v23, 44, v23
	v_and_b32_e32 v24, 52, v24
	;; [unrolled: 1-line block ×11, first 2 shown]
	v_add_nc_u32_e32 v18, v18, v48
	v_add_nc_u32_e32 v20, v20, v48
	;; [unrolled: 1-line block ×4, first 2 shown]
	s_mov_b32 s3, 0
	v_add_nc_u32_e32 v23, v23, v48
	v_add_nc_u32_e32 v24, v24, v48
	;; [unrolled: 1-line block ×11, first 2 shown]
	s_waitcnt vmcnt(15)
	ds_store_b32 v17, v1
	s_waitcnt vmcnt(14)
	ds_store_b32 v18, v2 offset:256
	s_waitcnt vmcnt(13)
	ds_store_b32 v20, v3 offset:512
	;; [unrolled: 2-line block ×15, first 2 shown]
	s_waitcnt lgkmcnt(0)
	s_barrier
.LBB57_2:
	v_cmp_gt_u32_e64 s2, s14, v0
	s_and_not1_b32 vcc_lo, exec_lo, s3
	s_cbranch_vccnz .LBB57_21
; %bb.3:
	s_load_b32 s16, s[4:5], 0x0
	v_add_co_u32 v17, s3, s4, v48
	s_delay_alu instid0(VALU_DEP_1)
	v_add_co_ci_u32_e64 v18, null, s5, 0, s3
	s_waitcnt lgkmcnt(0)
	s_mov_b32 s17, s16
	s_mov_b32 s18, s16
	;; [unrolled: 1-line block ×15, first 2 shown]
	v_dual_mov_b32 v1, s16 :: v_dual_mov_b32 v2, s17
	v_dual_mov_b32 v3, s18 :: v_dual_mov_b32 v4, s19
	;; [unrolled: 1-line block ×8, first 2 shown]
	v_mov_b32_e32 v20, s16
	s_and_saveexec_b32 s3, s2
	s_cbranch_execnz .LBB57_135
; %bb.4:
	s_or_b32 exec_lo, exec_lo, s3
	s_delay_alu instid0(SALU_CYCLE_1)
	s_mov_b32 s2, exec_lo
	v_cmpx_gt_u32_e64 s14, v47
	s_cbranch_execnz .LBB57_136
.LBB57_5:
	s_or_b32 exec_lo, exec_lo, s2
	s_delay_alu instid0(SALU_CYCLE_1)
	s_mov_b32 s2, exec_lo
	v_cmpx_gt_u32_e64 s14, v46
	s_cbranch_execnz .LBB57_137
.LBB57_6:
	s_or_b32 exec_lo, exec_lo, s2
	s_delay_alu instid0(SALU_CYCLE_1)
	s_mov_b32 s2, exec_lo
	v_cmpx_gt_u32_e64 s14, v45
	s_cbranch_execnz .LBB57_138
.LBB57_7:
	s_or_b32 exec_lo, exec_lo, s2
	s_delay_alu instid0(SALU_CYCLE_1)
	s_mov_b32 s2, exec_lo
	v_cmpx_gt_u32_e64 s14, v44
	s_cbranch_execnz .LBB57_139
.LBB57_8:
	s_or_b32 exec_lo, exec_lo, s2
	s_delay_alu instid0(SALU_CYCLE_1)
	s_mov_b32 s2, exec_lo
	v_cmpx_gt_u32_e64 s14, v43
	s_cbranch_execnz .LBB57_140
.LBB57_9:
	s_or_b32 exec_lo, exec_lo, s2
	s_delay_alu instid0(SALU_CYCLE_1)
	s_mov_b32 s2, exec_lo
	v_cmpx_gt_u32_e64 s14, v42
	s_cbranch_execnz .LBB57_141
.LBB57_10:
	s_or_b32 exec_lo, exec_lo, s2
	s_delay_alu instid0(SALU_CYCLE_1)
	s_mov_b32 s2, exec_lo
	v_cmpx_gt_u32_e64 s14, v41
	s_cbranch_execnz .LBB57_142
.LBB57_11:
	s_or_b32 exec_lo, exec_lo, s2
	s_delay_alu instid0(SALU_CYCLE_1)
	s_mov_b32 s2, exec_lo
	v_cmpx_gt_u32_e64 s14, v40
	s_cbranch_execnz .LBB57_143
.LBB57_12:
	s_or_b32 exec_lo, exec_lo, s2
	s_delay_alu instid0(SALU_CYCLE_1)
	s_mov_b32 s2, exec_lo
	v_cmpx_gt_u32_e64 s14, v39
	s_cbranch_execnz .LBB57_144
.LBB57_13:
	s_or_b32 exec_lo, exec_lo, s2
	s_delay_alu instid0(SALU_CYCLE_1)
	s_mov_b32 s2, exec_lo
	v_cmpx_gt_u32_e64 s14, v38
	s_cbranch_execnz .LBB57_145
.LBB57_14:
	s_or_b32 exec_lo, exec_lo, s2
	s_delay_alu instid0(SALU_CYCLE_1)
	s_mov_b32 s2, exec_lo
	v_cmpx_gt_u32_e64 s14, v37
	s_cbranch_execnz .LBB57_146
.LBB57_15:
	s_or_b32 exec_lo, exec_lo, s2
	s_delay_alu instid0(SALU_CYCLE_1)
	s_mov_b32 s2, exec_lo
	v_cmpx_gt_u32_e64 s14, v36
	s_cbranch_execnz .LBB57_147
.LBB57_16:
	s_or_b32 exec_lo, exec_lo, s2
	s_delay_alu instid0(SALU_CYCLE_1)
	s_mov_b32 s2, exec_lo
	v_cmpx_gt_u32_e64 s14, v35
	s_cbranch_execnz .LBB57_148
.LBB57_17:
	s_or_b32 exec_lo, exec_lo, s2
	s_delay_alu instid0(SALU_CYCLE_1)
	s_mov_b32 s2, exec_lo
	v_cmpx_gt_u32_e64 s14, v34
	s_cbranch_execnz .LBB57_149
.LBB57_18:
	s_or_b32 exec_lo, exec_lo, s2
	s_delay_alu instid0(SALU_CYCLE_1)
	s_mov_b32 s2, exec_lo
	v_cmpx_gt_u32_e64 s14, v33
	s_cbranch_execz .LBB57_20
.LBB57_19:
	global_load_b32 v16, v[17:18], off offset:3840
.LBB57_20:
	s_or_b32 exec_lo, exec_lo, s2
	v_lshrrev_b32_e32 v1, 3, v47
	v_lshrrev_b32_e32 v17, 3, v46
	v_and_b32_e32 v18, 4, v19
	v_lshrrev_b32_e32 v19, 3, v45
	v_lshrrev_b32_e32 v21, 3, v44
	;; [unrolled: 1-line block ×5, first 2 shown]
	v_and_b32_e32 v1, 12, v1
	v_and_b32_e32 v17, 28, v17
	;; [unrolled: 1-line block ×4, first 2 shown]
	v_add_nc_u32_e32 v18, v18, v48
	v_and_b32_e32 v22, 60, v22
	v_and_b32_e32 v23, 60, v23
	;; [unrolled: 1-line block ×3, first 2 shown]
	v_add_nc_u32_e32 v1, v1, v48
	v_add_nc_u32_e32 v17, v17, v48
	v_lshrrev_b32_e32 v25, 3, v40
	v_add_nc_u32_e32 v19, v19, v48
	v_lshrrev_b32_e32 v26, 3, v39
	v_add_nc_u32_e32 v21, v21, v48
	v_lshrrev_b32_e32 v27, 3, v38
	v_add_nc_u32_e32 v22, v22, v48
	v_add_nc_u32_e32 v23, v23, v48
	;; [unrolled: 1-line block ×3, first 2 shown]
	s_waitcnt vmcnt(0)
	ds_store_b32 v18, v20
	ds_store_b32 v1, v2 offset:256
	ds_store_b32 v17, v3 offset:512
	;; [unrolled: 1-line block ×7, first 2 shown]
	v_lshrrev_b32_e32 v4, 3, v37
	v_lshrrev_b32_e32 v5, 3, v36
	v_and_b32_e32 v25, 0x7c, v25
	v_lshrrev_b32_e32 v6, 3, v35
	v_lshrrev_b32_e32 v7, 3, v34
	;; [unrolled: 1-line block ×3, first 2 shown]
	v_and_b32_e32 v26, 0x7c, v26
	v_and_b32_e32 v27, 0x7c, v27
	;; [unrolled: 1-line block ×4, first 2 shown]
	v_add_nc_u32_e32 v1, v25, v48
	v_and_b32_e32 v6, 0x7c, v6
	v_and_b32_e32 v7, 0x7c, v7
	;; [unrolled: 1-line block ×3, first 2 shown]
	v_add_nc_u32_e32 v2, v26, v48
	v_add_nc_u32_e32 v3, v27, v48
	;; [unrolled: 1-line block ×7, first 2 shown]
	ds_store_b32 v1, v9 offset:2048
	ds_store_b32 v2, v10 offset:2304
	;; [unrolled: 1-line block ×8, first 2 shown]
	s_waitcnt lgkmcnt(0)
	s_barrier
.LBB57_21:
	v_lshlrev_b32_e32 v1, 4, v0
	v_lshrrev_b32_e32 v50, 1, v0
	buffer_gl0_inv
	s_load_b64 s[4:5], s[0:1], 0x20
	v_mbcnt_lo_u32_b32 v51, -1, 0
	v_lshrrev_b32_e32 v49, 5, v0
	v_add_lshl_u32 v1, v50, v1, 2
	v_or_b32_e32 v52, 31, v0
	s_cmp_lg_u32 s15, 0
	ds_load_2addr_b32 v[29:30], v1 offset1:1
	ds_load_2addr_b32 v[31:32], v1 offset0:2 offset1:3
	ds_load_2addr_b32 v[27:28], v1 offset0:4 offset1:5
	;; [unrolled: 1-line block ×7, first 2 shown]
	s_waitcnt lgkmcnt(0)
	s_barrier
	buffer_gl0_inv
	s_cbranch_scc0 .LBB57_47
; %bb.22:
	v_mul_f32_e32 v1, v29, v30
	s_mov_b32 s2, exec_lo
	s_delay_alu instid0(VALU_DEP_1) | instskip(NEXT) | instid1(VALU_DEP_1)
	v_mul_f32_e32 v1, v31, v1
	v_mul_f32_e32 v1, v32, v1
	s_delay_alu instid0(VALU_DEP_1) | instskip(NEXT) | instid1(VALU_DEP_1)
	v_mul_f32_e32 v1, v27, v1
	v_mul_f32_e32 v1, v28, v1
	;; [unrolled: 3-line block ×7, first 2 shown]
	s_delay_alu instid0(VALU_DEP_1) | instskip(NEXT) | instid1(VALU_DEP_1)
	v_mov_b32_dpp v2, v1 row_shr:1 row_mask:0xf bank_mask:0xf
	v_dual_mul_f32 v2, v1, v2 :: v_dual_and_b32 v3, 15, v51
	s_delay_alu instid0(VALU_DEP_1) | instskip(NEXT) | instid1(VALU_DEP_2)
	v_cmp_eq_u32_e32 vcc_lo, 0, v3
	v_cndmask_b32_e32 v1, v2, v1, vcc_lo
	v_cmp_lt_u32_e32 vcc_lo, 1, v3
	s_delay_alu instid0(VALU_DEP_2) | instskip(NEXT) | instid1(VALU_DEP_1)
	v_mov_b32_dpp v2, v1 row_shr:2 row_mask:0xf bank_mask:0xf
	v_mul_f32_e32 v2, v1, v2
	s_delay_alu instid0(VALU_DEP_1) | instskip(SKIP_1) | instid1(VALU_DEP_2)
	v_cndmask_b32_e32 v1, v1, v2, vcc_lo
	v_cmp_lt_u32_e32 vcc_lo, 3, v3
	v_mov_b32_dpp v2, v1 row_shr:4 row_mask:0xf bank_mask:0xf
	s_delay_alu instid0(VALU_DEP_1) | instskip(NEXT) | instid1(VALU_DEP_1)
	v_mul_f32_e32 v2, v1, v2
	v_cndmask_b32_e32 v1, v1, v2, vcc_lo
	v_cmp_lt_u32_e32 vcc_lo, 7, v3
	v_and_b32_e32 v3, 16, v51
	s_delay_alu instid0(VALU_DEP_3) | instskip(NEXT) | instid1(VALU_DEP_1)
	v_mov_b32_dpp v2, v1 row_shr:8 row_mask:0xf bank_mask:0xf
	v_mul_f32_e32 v2, v1, v2
	s_delay_alu instid0(VALU_DEP_1) | instskip(NEXT) | instid1(VALU_DEP_4)
	v_cndmask_b32_e32 v1, v1, v2, vcc_lo
	v_cmp_eq_u32_e32 vcc_lo, 0, v3
	ds_swizzle_b32 v2, v1 offset:swizzle(BROADCAST,32,15)
	s_waitcnt lgkmcnt(0)
	v_mul_f32_e32 v2, v1, v2
	s_delay_alu instid0(VALU_DEP_1)
	v_cndmask_b32_e32 v1, v2, v1, vcc_lo
	v_cmpx_eq_u32_e64 v52, v0
	s_cbranch_execz .LBB57_24
; %bb.23:
	v_lshlrev_b32_e32 v2, 2, v49
	ds_store_b32 v2, v1
.LBB57_24:
	s_or_b32 exec_lo, exec_lo, s2
	s_delay_alu instid0(SALU_CYCLE_1)
	s_mov_b32 s2, exec_lo
	s_waitcnt lgkmcnt(0)
	s_barrier
	buffer_gl0_inv
	v_cmpx_gt_u32_e32 2, v0
	s_cbranch_execz .LBB57_26
; %bb.25:
	ds_load_b32 v2, v48
	v_and_b32_e32 v4, 1, v51
	s_delay_alu instid0(VALU_DEP_1) | instskip(SKIP_2) | instid1(VALU_DEP_1)
	v_cmp_eq_u32_e32 vcc_lo, 0, v4
	s_waitcnt lgkmcnt(0)
	v_mov_b32_dpp v3, v2 row_shr:1 row_mask:0xf bank_mask:0xf
	v_mul_f32_e32 v3, v2, v3
	s_delay_alu instid0(VALU_DEP_1)
	v_cndmask_b32_e32 v2, v3, v2, vcc_lo
	ds_store_b32 v48, v2
.LBB57_26:
	s_or_b32 exec_lo, exec_lo, s2
	v_cmp_gt_u32_e32 vcc_lo, 32, v0
	s_mov_b32 s3, exec_lo
	s_waitcnt lgkmcnt(0)
	s_barrier
	buffer_gl0_inv
                                        ; implicit-def: $vgpr8
	v_cmpx_lt_u32_e32 31, v0
	s_cbranch_execz .LBB57_28
; %bb.27:
	v_lshl_add_u32 v2, v49, 2, -4
	ds_load_b32 v8, v2
	s_waitcnt lgkmcnt(0)
	v_mul_f32_e32 v1, v1, v8
.LBB57_28:
	s_or_b32 exec_lo, exec_lo, s3
	v_add_nc_u32_e32 v2, -1, v51
	s_delay_alu instid0(VALU_DEP_1) | instskip(NEXT) | instid1(VALU_DEP_1)
	v_cmp_gt_i32_e64 s2, 0, v2
	v_cndmask_b32_e64 v2, v2, v51, s2
	v_cmp_eq_u32_e64 s2, 0, v51
	s_delay_alu instid0(VALU_DEP_2)
	v_lshlrev_b32_e32 v2, 2, v2
	ds_bpermute_b32 v9, v2, v1
	s_and_saveexec_b32 s8, vcc_lo
	s_cbranch_execz .LBB57_46
; %bb.29:
	v_mov_b32_e32 v4, 0
	ds_load_b32 v1, v4 offset:4
	s_and_saveexec_b32 s3, s2
	s_cbranch_execz .LBB57_31
; %bb.30:
	s_add_i32 s10, s15, 32
	s_mov_b32 s11, 0
	v_mov_b32_e32 v2, 1
	s_lshl_b64 s[10:11], s[10:11], 3
	s_delay_alu instid0(SALU_CYCLE_1)
	s_add_u32 s10, s4, s10
	s_addc_u32 s11, s5, s11
	s_waitcnt lgkmcnt(0)
	global_store_b64 v4, v[1:2], s[10:11]
.LBB57_31:
	s_or_b32 exec_lo, exec_lo, s3
	v_xad_u32 v2, v51, -1, s15
	s_mov_b32 s3, exec_lo
	s_delay_alu instid0(VALU_DEP_1) | instskip(NEXT) | instid1(VALU_DEP_1)
	v_add_nc_u32_e32 v3, 32, v2
	v_lshlrev_b64 v[3:4], 3, v[3:4]
	s_delay_alu instid0(VALU_DEP_1) | instskip(NEXT) | instid1(VALU_DEP_2)
	v_add_co_u32 v6, vcc_lo, s4, v3
	v_add_co_ci_u32_e32 v7, vcc_lo, s5, v4, vcc_lo
	global_load_b64 v[4:5], v[6:7], off glc
	s_waitcnt vmcnt(0)
	v_and_b32_e32 v3, 0xff, v5
	s_delay_alu instid0(VALU_DEP_1)
	v_cmpx_eq_u16_e32 0, v3
	s_cbranch_execz .LBB57_34
.LBB57_32:                              ; =>This Inner Loop Header: Depth=1
	global_load_b64 v[4:5], v[6:7], off glc
	s_waitcnt vmcnt(0)
	v_and_b32_e32 v3, 0xff, v5
	s_delay_alu instid0(VALU_DEP_1) | instskip(SKIP_1) | instid1(SALU_CYCLE_1)
	v_cmp_ne_u16_e32 vcc_lo, 0, v3
	s_or_b32 s9, vcc_lo, s9
	s_and_not1_b32 exec_lo, exec_lo, s9
	s_cbranch_execnz .LBB57_32
; %bb.33:
	s_or_b32 exec_lo, exec_lo, s9
.LBB57_34:
	s_delay_alu instid0(SALU_CYCLE_1)
	s_or_b32 exec_lo, exec_lo, s3
	v_cmp_ne_u32_e32 vcc_lo, 31, v51
	v_and_b32_e32 v6, 0xff, v5
	v_lshlrev_b32_e64 v11, v51, -1
	v_add_nc_u32_e32 v12, 1, v51
	v_cmp_gt_u32_e64 s3, 30, v51
	v_add_co_ci_u32_e32 v3, vcc_lo, 0, v51, vcc_lo
	v_cmp_eq_u16_e32 vcc_lo, 2, v6
	v_add_nc_u32_e32 v14, 2, v51
	s_delay_alu instid0(VALU_DEP_4) | instskip(SKIP_4) | instid1(VALU_DEP_2)
	v_cndmask_b32_e64 v6, 0, 1, s3
	v_add_nc_u32_e32 v16, 4, v51
	v_add_nc_u32_e32 v55, 8, v51
	v_and_or_b32 v7, vcc_lo, v11, 0x80000000
	v_add_nc_u32_e32 v57, 16, v51
	v_ctz_i32_b32_e32 v7, v7
	s_delay_alu instid0(VALU_DEP_1) | instskip(SKIP_4) | instid1(VALU_DEP_1)
	v_cmp_gt_u32_e32 vcc_lo, v12, v7
	v_lshlrev_b32_e32 v10, 2, v3
	ds_bpermute_b32 v3, v10, v4
	s_waitcnt lgkmcnt(0)
	v_mul_f32_e32 v3, v4, v3
	v_dual_cndmask_b32 v3, v3, v4 :: v_dual_lshlrev_b32 v6, 1, v6
	v_cmp_gt_u32_e32 vcc_lo, 28, v51
	s_delay_alu instid0(VALU_DEP_2)
	v_add_lshl_u32 v13, v6, v51, 2
	v_cndmask_b32_e64 v6, 0, 1, vcc_lo
	v_cmp_gt_u32_e32 vcc_lo, v14, v7
	ds_bpermute_b32 v4, v13, v3
	s_waitcnt lgkmcnt(0)
	v_mul_f32_e32 v4, v3, v4
	s_delay_alu instid0(VALU_DEP_1) | instskip(SKIP_1) | instid1(VALU_DEP_2)
	v_dual_cndmask_b32 v3, v4, v3 :: v_dual_lshlrev_b32 v6, 2, v6
	v_cmp_gt_u32_e32 vcc_lo, 24, v51
	v_add_lshl_u32 v15, v6, v51, 2
	v_cndmask_b32_e64 v6, 0, 1, vcc_lo
	v_cmp_gt_u32_e32 vcc_lo, v16, v7
	ds_bpermute_b32 v4, v15, v3
	s_waitcnt lgkmcnt(0)
	v_mul_f32_e32 v4, v3, v4
	s_delay_alu instid0(VALU_DEP_1) | instskip(SKIP_1) | instid1(VALU_DEP_2)
	v_dual_cndmask_b32 v3, v4, v3 :: v_dual_lshlrev_b32 v6, 3, v6
	v_cmp_gt_u32_e32 vcc_lo, 16, v51
	v_add_lshl_u32 v53, v6, v51, 2
	v_cndmask_b32_e64 v6, 0, 1, vcc_lo
	v_cmp_gt_u32_e32 vcc_lo, v55, v7
	ds_bpermute_b32 v4, v53, v3
	v_lshlrev_b32_e32 v6, 4, v6
	s_delay_alu instid0(VALU_DEP_1) | instskip(SKIP_2) | instid1(VALU_DEP_1)
	v_add_lshl_u32 v56, v6, v51, 2
	s_waitcnt lgkmcnt(0)
	v_mul_f32_e32 v4, v3, v4
	v_cndmask_b32_e32 v3, v4, v3, vcc_lo
	v_cmp_gt_u32_e32 vcc_lo, v57, v7
	ds_bpermute_b32 v4, v56, v3
	s_waitcnt lgkmcnt(0)
	v_mul_f32_e32 v4, v3, v4
	s_delay_alu instid0(VALU_DEP_1)
	v_dual_cndmask_b32 v4, v4, v3 :: v_dual_mov_b32 v3, 0
	s_branch .LBB57_36
.LBB57_35:                              ;   in Loop: Header=BB57_36 Depth=1
	s_or_b32 exec_lo, exec_lo, s3
	ds_bpermute_b32 v6, v10, v4
	v_and_b32_e32 v7, 0xff, v5
	v_subrev_nc_u32_e32 v2, 32, v2
	s_waitcnt lgkmcnt(0)
	v_mul_f32_e32 v6, v4, v6
	s_delay_alu instid0(VALU_DEP_3) | instskip(SKIP_1) | instid1(VALU_DEP_1)
	v_cmp_eq_u16_e32 vcc_lo, 2, v7
	v_and_or_b32 v7, vcc_lo, v11, 0x80000000
	v_ctz_i32_b32_e32 v7, v7
	s_delay_alu instid0(VALU_DEP_1)
	v_cmp_gt_u32_e32 vcc_lo, v12, v7
	v_cndmask_b32_e32 v4, v6, v4, vcc_lo
	v_cmp_gt_u32_e32 vcc_lo, v14, v7
	ds_bpermute_b32 v6, v13, v4
	s_waitcnt lgkmcnt(0)
	v_mul_f32_e32 v6, v4, v6
	s_delay_alu instid0(VALU_DEP_1) | instskip(SKIP_4) | instid1(VALU_DEP_1)
	v_cndmask_b32_e32 v4, v6, v4, vcc_lo
	v_cmp_gt_u32_e32 vcc_lo, v16, v7
	ds_bpermute_b32 v6, v15, v4
	s_waitcnt lgkmcnt(0)
	v_mul_f32_e32 v6, v4, v6
	v_cndmask_b32_e32 v4, v6, v4, vcc_lo
	v_cmp_gt_u32_e32 vcc_lo, v55, v7
	ds_bpermute_b32 v6, v53, v4
	s_waitcnt lgkmcnt(0)
	v_mul_f32_e32 v6, v4, v6
	s_delay_alu instid0(VALU_DEP_1) | instskip(SKIP_4) | instid1(VALU_DEP_1)
	v_cndmask_b32_e32 v4, v6, v4, vcc_lo
	v_cmp_gt_u32_e32 vcc_lo, v57, v7
	ds_bpermute_b32 v6, v56, v4
	s_waitcnt lgkmcnt(0)
	v_mul_f32_e32 v6, v4, v6
	v_cndmask_b32_e32 v4, v6, v4, vcc_lo
	s_delay_alu instid0(VALU_DEP_1)
	v_mul_f32_e32 v4, v54, v4
.LBB57_36:                              ; =>This Loop Header: Depth=1
                                        ;     Child Loop BB57_39 Depth 2
	s_delay_alu instid0(VALU_DEP_1) | instskip(NEXT) | instid1(VALU_DEP_1)
	v_dual_mov_b32 v54, v4 :: v_dual_and_b32 v5, 0xff, v5
	v_cmp_ne_u16_e32 vcc_lo, 2, v5
	v_cndmask_b32_e64 v5, 0, 1, vcc_lo
	;;#ASMSTART
	;;#ASMEND
	s_delay_alu instid0(VALU_DEP_1)
	v_cmp_ne_u32_e32 vcc_lo, 0, v5
	s_cmp_lg_u32 vcc_lo, exec_lo
	s_cbranch_scc1 .LBB57_41
; %bb.37:                               ;   in Loop: Header=BB57_36 Depth=1
	v_lshlrev_b64 v[4:5], 3, v[2:3]
	s_mov_b32 s3, exec_lo
	s_delay_alu instid0(VALU_DEP_1) | instskip(NEXT) | instid1(VALU_DEP_2)
	v_add_co_u32 v6, vcc_lo, s4, v4
	v_add_co_ci_u32_e32 v7, vcc_lo, s5, v5, vcc_lo
	global_load_b64 v[4:5], v[6:7], off glc
	s_waitcnt vmcnt(0)
	v_and_b32_e32 v58, 0xff, v5
	s_delay_alu instid0(VALU_DEP_1)
	v_cmpx_eq_u16_e32 0, v58
	s_cbranch_execz .LBB57_35
; %bb.38:                               ;   in Loop: Header=BB57_36 Depth=1
	s_mov_b32 s9, 0
.LBB57_39:                              ;   Parent Loop BB57_36 Depth=1
                                        ; =>  This Inner Loop Header: Depth=2
	global_load_b64 v[4:5], v[6:7], off glc
	s_waitcnt vmcnt(0)
	v_and_b32_e32 v58, 0xff, v5
	s_delay_alu instid0(VALU_DEP_1) | instskip(SKIP_1) | instid1(SALU_CYCLE_1)
	v_cmp_ne_u16_e32 vcc_lo, 0, v58
	s_or_b32 s9, vcc_lo, s9
	s_and_not1_b32 exec_lo, exec_lo, s9
	s_cbranch_execnz .LBB57_39
; %bb.40:                               ;   in Loop: Header=BB57_36 Depth=1
	s_or_b32 exec_lo, exec_lo, s9
	s_branch .LBB57_35
.LBB57_41:                              ;   in Loop: Header=BB57_36 Depth=1
                                        ; implicit-def: $vgpr4
                                        ; implicit-def: $vgpr5
	s_cbranch_execz .LBB57_36
; %bb.42:
	s_and_saveexec_b32 s3, s2
	s_cbranch_execz .LBB57_44
; %bb.43:
	s_add_i32 s10, s15, 32
	s_mov_b32 s11, 0
	v_dual_mov_b32 v3, 0 :: v_dual_mov_b32 v2, 2
	s_lshl_b64 s[10:11], s[10:11], 3
	v_mul_f32_e32 v1, v1, v54
	s_add_u32 s10, s4, s10
	s_addc_u32 s11, s5, s11
	global_store_b64 v3, v[1:2], s[10:11]
.LBB57_44:
	s_or_b32 exec_lo, exec_lo, s3
	v_cmp_eq_u32_e32 vcc_lo, 0, v0
	s_and_b32 exec_lo, exec_lo, vcc_lo
	s_cbranch_execz .LBB57_46
; %bb.45:
	v_mov_b32_e32 v1, 0
	ds_store_b32 v1, v54 offset:4
.LBB57_46:
	s_or_b32 exec_lo, exec_lo, s8
	s_waitcnt lgkmcnt(0)
	v_cndmask_b32_e64 v2, v9, v8, s2
	v_mov_b32_e32 v1, 0
	s_waitcnt_vscnt null, 0x0
	s_barrier
	buffer_gl0_inv
	v_mul_f32_e32 v2, v29, v2
	ds_load_b32 v1, v1 offset:4
	v_cmp_eq_u32_e32 vcc_lo, 0, v0
	v_cndmask_b32_e32 v2, v2, v29, vcc_lo
	s_waitcnt lgkmcnt(0)
	s_delay_alu instid0(VALU_DEP_1) | instskip(NEXT) | instid1(VALU_DEP_1)
	v_mul_f32_e32 v1, v2, v1
	v_mul_f32_e32 v2, v30, v1
	s_delay_alu instid0(VALU_DEP_1) | instskip(NEXT) | instid1(VALU_DEP_1)
	v_mul_f32_e32 v3, v31, v2
	v_mul_f32_e32 v4, v32, v3
	;; [unrolled: 3-line block ×8, first 2 shown]
	s_load_b128 s[8:11], s[0:1], 0x30
	s_branch .LBB57_59
.LBB57_47:
                                        ; implicit-def: $vgpr1_vgpr2_vgpr3_vgpr4_vgpr5_vgpr6_vgpr7_vgpr8_vgpr9_vgpr10_vgpr11_vgpr12_vgpr13_vgpr14_vgpr15_vgpr16
	s_load_b128 s[8:11], s[0:1], 0x30
	s_cbranch_execz .LBB57_59
; %bb.48:
	s_load_b32 s2, s[0:1], 0x40
	v_cmp_eq_u32_e32 vcc_lo, 0, v0
	s_waitcnt lgkmcnt(0)
	s_bitcmp1_b32 s2, 0
	s_cselect_b32 s2, -1, 0
	s_delay_alu instid0(SALU_CYCLE_1) | instskip(NEXT) | instid1(SALU_CYCLE_1)
	s_and_b32 s3, vcc_lo, s2
	s_and_saveexec_b32 s2, s3
	s_cbranch_execz .LBB57_50
; %bb.49:
	s_load_b32 s3, s[8:9], 0x0
	s_waitcnt lgkmcnt(0)
	v_mul_f32_e32 v29, s3, v29
.LBB57_50:
	s_or_b32 exec_lo, exec_lo, s2
	s_delay_alu instid0(VALU_DEP_1) | instskip(SKIP_1) | instid1(VALU_DEP_1)
	v_mul_f32_e32 v1, v29, v30
	s_mov_b32 s3, exec_lo
	v_mul_f32_e32 v1, v31, v1
	s_delay_alu instid0(VALU_DEP_1) | instskip(NEXT) | instid1(VALU_DEP_1)
	v_mul_f32_e32 v1, v32, v1
	v_mul_f32_e32 v1, v27, v1
	s_delay_alu instid0(VALU_DEP_1) | instskip(NEXT) | instid1(VALU_DEP_1)
	v_mul_f32_e32 v1, v28, v1
	;; [unrolled: 3-line block ×7, first 2 shown]
	v_mov_b32_dpp v2, v1 row_shr:1 row_mask:0xf bank_mask:0xf
	s_delay_alu instid0(VALU_DEP_1) | instskip(NEXT) | instid1(VALU_DEP_1)
	v_dual_mul_f32 v2, v1, v2 :: v_dual_and_b32 v3, 15, v51
	v_cmp_eq_u32_e64 s2, 0, v3
	s_delay_alu instid0(VALU_DEP_1) | instskip(SKIP_1) | instid1(VALU_DEP_2)
	v_cndmask_b32_e64 v1, v2, v1, s2
	v_cmp_lt_u32_e64 s2, 1, v3
	v_mov_b32_dpp v2, v1 row_shr:2 row_mask:0xf bank_mask:0xf
	s_delay_alu instid0(VALU_DEP_1) | instskip(NEXT) | instid1(VALU_DEP_1)
	v_mul_f32_e32 v2, v1, v2
	v_cndmask_b32_e64 v1, v1, v2, s2
	v_cmp_lt_u32_e64 s2, 3, v3
	s_delay_alu instid0(VALU_DEP_2) | instskip(NEXT) | instid1(VALU_DEP_1)
	v_mov_b32_dpp v2, v1 row_shr:4 row_mask:0xf bank_mask:0xf
	v_mul_f32_e32 v2, v1, v2
	s_delay_alu instid0(VALU_DEP_1) | instskip(SKIP_2) | instid1(VALU_DEP_3)
	v_cndmask_b32_e64 v1, v1, v2, s2
	v_cmp_lt_u32_e64 s2, 7, v3
	v_and_b32_e32 v3, 16, v51
	v_mov_b32_dpp v2, v1 row_shr:8 row_mask:0xf bank_mask:0xf
	s_delay_alu instid0(VALU_DEP_1) | instskip(NEXT) | instid1(VALU_DEP_1)
	v_mul_f32_e32 v2, v1, v2
	v_cndmask_b32_e64 v1, v1, v2, s2
	s_delay_alu instid0(VALU_DEP_4) | instskip(SKIP_3) | instid1(VALU_DEP_1)
	v_cmp_eq_u32_e64 s2, 0, v3
	ds_swizzle_b32 v2, v1 offset:swizzle(BROADCAST,32,15)
	s_waitcnt lgkmcnt(0)
	v_mul_f32_e32 v2, v1, v2
	v_cndmask_b32_e64 v1, v2, v1, s2
	v_cmpx_eq_u32_e64 v52, v0
	s_cbranch_execz .LBB57_52
; %bb.51:
	v_lshlrev_b32_e32 v2, 2, v49
	ds_store_b32 v2, v1
.LBB57_52:
	s_or_b32 exec_lo, exec_lo, s3
	s_delay_alu instid0(SALU_CYCLE_1)
	s_mov_b32 s3, exec_lo
	s_waitcnt lgkmcnt(0)
	s_barrier
	buffer_gl0_inv
	v_cmpx_gt_u32_e32 2, v0
	s_cbranch_execz .LBB57_54
; %bb.53:
	ds_load_b32 v2, v48
	v_and_b32_e32 v4, 1, v51
	s_delay_alu instid0(VALU_DEP_1) | instskip(SKIP_2) | instid1(VALU_DEP_1)
	v_cmp_eq_u32_e64 s2, 0, v4
	s_waitcnt lgkmcnt(0)
	v_mov_b32_dpp v3, v2 row_shr:1 row_mask:0xf bank_mask:0xf
	v_mul_f32_e32 v3, v2, v3
	s_delay_alu instid0(VALU_DEP_1)
	v_cndmask_b32_e64 v2, v3, v2, s2
	ds_store_b32 v48, v2
.LBB57_54:
	s_or_b32 exec_lo, exec_lo, s3
	s_delay_alu instid0(SALU_CYCLE_1)
	s_mov_b32 s3, exec_lo
	s_waitcnt lgkmcnt(0)
	s_barrier
	buffer_gl0_inv
                                        ; implicit-def: $vgpr2
	v_cmpx_lt_u32_e32 31, v0
	s_cbranch_execz .LBB57_56
; %bb.55:
	v_lshl_add_u32 v2, v49, 2, -4
	ds_load_b32 v2, v2
	s_waitcnt lgkmcnt(0)
	v_mul_f32_e32 v1, v1, v2
.LBB57_56:
	s_or_b32 exec_lo, exec_lo, s3
	v_add_nc_u32_e32 v3, -1, v51
	s_delay_alu instid0(VALU_DEP_1) | instskip(NEXT) | instid1(VALU_DEP_1)
	v_cmp_gt_i32_e64 s2, 0, v3
	v_cndmask_b32_e64 v3, v3, v51, s2
	v_cmp_eq_u32_e64 s2, 0, v51
	s_delay_alu instid0(VALU_DEP_2) | instskip(SKIP_3) | instid1(VALU_DEP_1)
	v_lshlrev_b32_e32 v3, 2, v3
	ds_bpermute_b32 v1, v3, v1
	s_waitcnt lgkmcnt(0)
	v_cndmask_b32_e64 v1, v1, v2, s2
	v_mul_f32_e32 v1, v29, v1
	s_delay_alu instid0(VALU_DEP_1) | instskip(NEXT) | instid1(VALU_DEP_1)
	v_cndmask_b32_e32 v1, v1, v29, vcc_lo
	v_mul_f32_e32 v2, v30, v1
	s_delay_alu instid0(VALU_DEP_1) | instskip(NEXT) | instid1(VALU_DEP_1)
	v_mul_f32_e32 v3, v31, v2
	v_mul_f32_e32 v4, v32, v3
	s_delay_alu instid0(VALU_DEP_1) | instskip(NEXT) | instid1(VALU_DEP_1)
	v_mul_f32_e32 v5, v27, v4
	;; [unrolled: 3-line block ×7, first 2 shown]
	v_mul_f32_e32 v16, v18, v15
	s_and_saveexec_b32 s2, vcc_lo
	s_cbranch_execz .LBB57_58
; %bb.57:
	v_dual_mov_b32 v19, 0 :: v_dual_mov_b32 v18, 2
	ds_load_b32 v17, v19 offset:4
	s_waitcnt lgkmcnt(0)
	global_store_b64 v19, v[17:18], s[4:5] offset:256
.LBB57_58:
	s_or_b32 exec_lo, exec_lo, s2
.LBB57_59:
	v_lshlrev_b32_e32 v17, 6, v0
	s_add_u32 s2, s6, s12
	s_addc_u32 s3, s7, s13
	s_and_b32 vcc_lo, exec_lo, s34
	s_mov_b32 s4, -1
	s_waitcnt lgkmcnt(0)
	s_waitcnt_vscnt null, 0x0
	s_barrier
	buffer_gl0_inv
	s_cbranch_vccz .LBB57_61
; %bb.60:
	v_lshl_add_u32 v18, v50, 2, v17
	v_lshrrev_b32_e32 v26, 5, v40
	v_lshrrev_b32_e32 v27, 5, v39
	;; [unrolled: 1-line block ×4, first 2 shown]
	ds_store_2addr_b32 v18, v1, v2 offset1:1
	ds_store_2addr_b32 v18, v3, v4 offset0:2 offset1:3
	ds_store_2addr_b32 v18, v5, v6 offset0:4 offset1:5
	;; [unrolled: 1-line block ×7, first 2 shown]
	v_lshrrev_b32_e32 v18, 5, v47
	v_lshrrev_b32_e32 v21, 5, v45
	;; [unrolled: 1-line block ×11, first 2 shown]
	v_add_lshl_u32 v20, v49, v0, 2
	v_add_lshl_u32 v26, v26, v0, 2
	v_add_lshl_u32 v18, v18, v0, 2
	v_add_lshl_u32 v27, v27, v0, 2
	v_add_lshl_u32 v19, v19, v0, 2
	v_add_lshl_u32 v28, v28, v0, 2
	v_add_lshl_u32 v21, v21, v0, 2
	v_add_lshl_u32 v29, v29, v0, 2
	v_add_lshl_u32 v22, v22, v0, 2
	v_add_lshl_u32 v23, v23, v0, 2
	v_add_lshl_u32 v24, v24, v0, 2
	v_add_lshl_u32 v25, v25, v0, 2
	v_add_lshl_u32 v30, v30, v0, 2
	v_add_lshl_u32 v31, v31, v0, 2
	v_add_lshl_u32 v32, v32, v0, 2
	v_add_lshl_u32 v51, v51, v0, 2
	s_waitcnt lgkmcnt(0)
	s_barrier
	buffer_gl0_inv
	ds_load_b32 v20, v20
	ds_load_b32 v18, v18 offset:256
	ds_load_b32 v19, v19 offset:512
	;; [unrolled: 1-line block ×15, first 2 shown]
	s_waitcnt lgkmcnt(15)
	global_store_b32 v48, v20, s[2:3]
	s_waitcnt lgkmcnt(14)
	global_store_b32 v48, v18, s[2:3] offset:256
	s_waitcnt lgkmcnt(13)
	global_store_b32 v48, v19, s[2:3] offset:512
	;; [unrolled: 2-line block ×7, first 2 shown]
	s_mov_b32 s4, 0
	s_waitcnt lgkmcnt(7)
	global_store_b32 v48, v26, s[2:3] offset:2048
	s_waitcnt lgkmcnt(6)
	global_store_b32 v48, v27, s[2:3] offset:2304
	s_waitcnt lgkmcnt(5)
	global_store_b32 v48, v28, s[2:3] offset:2560
	s_waitcnt lgkmcnt(4)
	global_store_b32 v48, v29, s[2:3] offset:2816
	s_waitcnt lgkmcnt(3)
	global_store_b32 v48, v30, s[2:3] offset:3072
	s_waitcnt lgkmcnt(2)
	global_store_b32 v48, v31, s[2:3] offset:3328
	s_waitcnt lgkmcnt(1)
	global_store_b32 v48, v32, s[2:3] offset:3584
	s_waitcnt lgkmcnt(0)
	global_store_b32 v48, v51, s[2:3] offset:3840
.LBB57_61:
	s_and_not1_b32 vcc_lo, exec_lo, s4
	s_cbranch_vccnz .LBB57_134
; %bb.62:
	v_lshl_add_u32 v17, v50, 2, v17
	ds_store_2addr_b32 v17, v1, v2 offset1:1
	ds_store_2addr_b32 v17, v3, v4 offset0:2 offset1:3
	ds_store_2addr_b32 v17, v5, v6 offset0:4 offset1:5
	;; [unrolled: 1-line block ×7, first 2 shown]
	v_lshrrev_b32_e32 v1, 5, v47
	v_lshrrev_b32_e32 v2, 5, v46
	;; [unrolled: 1-line block ×6, first 2 shown]
	v_add_lshl_u32 v3, v49, v0, 2
	v_lshrrev_b32_e32 v8, 5, v41
	v_add_lshl_u32 v1, v1, v0, 2
	v_lshrrev_b32_e32 v14, 5, v40
	;; [unrolled: 2-line block ×3, first 2 shown]
	v_lshrrev_b32_e32 v16, 5, v38
	v_add_lshl_u32 v9, v4, v0, 2
	v_add_lshl_u32 v10, v5, v0, 2
	v_add_lshl_u32 v11, v6, v0, 2
	v_add_lshl_u32 v12, v7, v0, 2
	s_waitcnt lgkmcnt(0)
	s_waitcnt_vscnt null, 0x0
	s_barrier
	buffer_gl0_inv
	v_add_lshl_u32 v13, v8, v0, 2
	ds_load_b32 v5, v3
	ds_load_b32 v4, v1 offset:256
	ds_load_b32 v6, v2 offset:512
	;; [unrolled: 1-line block ×7, first 2 shown]
	v_lshrrev_b32_e32 v12, 5, v37
	v_add_lshl_u32 v1, v14, v0, 2
	v_lshrrev_b32_e32 v13, 5, v36
	v_lshrrev_b32_e32 v14, 5, v35
	v_add_lshl_u32 v2, v15, v0, 2
	v_add_lshl_u32 v3, v16, v0, 2
	v_lshrrev_b32_e32 v15, 5, v34
	v_lshrrev_b32_e32 v16, 5, v33
	v_add_lshl_u32 v17, v12, v0, 2
	v_add_lshl_u32 v18, v13, v0, 2
	;; [unrolled: 1-line block ×5, first 2 shown]
	ds_load_b32 v12, v1 offset:2048
	ds_load_b32 v13, v2 offset:2304
	;; [unrolled: 1-line block ×8, first 2 shown]
	v_add_co_u32 v2, s2, s2, v48
	v_mov_b32_e32 v1, 0
	v_add_co_ci_u32_e64 v3, null, s3, 0, s2
	s_mov_b32 s2, exec_lo
	v_cmpx_gt_u32_e64 s14, v0
	s_cbranch_execnz .LBB57_150
; %bb.63:
	s_or_b32 exec_lo, exec_lo, s2
	s_delay_alu instid0(SALU_CYCLE_1)
	s_mov_b32 s2, exec_lo
	v_cmpx_gt_u32_e64 s14, v47
	s_cbranch_execnz .LBB57_151
.LBB57_64:
	s_or_b32 exec_lo, exec_lo, s2
	s_delay_alu instid0(SALU_CYCLE_1)
	s_mov_b32 s2, exec_lo
	v_cmpx_gt_u32_e64 s14, v46
	s_cbranch_execnz .LBB57_152
.LBB57_65:
	s_or_b32 exec_lo, exec_lo, s2
	s_delay_alu instid0(SALU_CYCLE_1)
	s_mov_b32 s2, exec_lo
	v_cmpx_gt_u32_e64 s14, v45
	s_cbranch_execnz .LBB57_153
.LBB57_66:
	s_or_b32 exec_lo, exec_lo, s2
	s_delay_alu instid0(SALU_CYCLE_1)
	s_mov_b32 s2, exec_lo
	v_cmpx_gt_u32_e64 s14, v44
	s_cbranch_execnz .LBB57_154
.LBB57_67:
	s_or_b32 exec_lo, exec_lo, s2
	s_delay_alu instid0(SALU_CYCLE_1)
	s_mov_b32 s2, exec_lo
	v_cmpx_gt_u32_e64 s14, v43
	s_cbranch_execnz .LBB57_155
.LBB57_68:
	s_or_b32 exec_lo, exec_lo, s2
	s_delay_alu instid0(SALU_CYCLE_1)
	s_mov_b32 s2, exec_lo
	v_cmpx_gt_u32_e64 s14, v42
	s_cbranch_execnz .LBB57_156
.LBB57_69:
	s_or_b32 exec_lo, exec_lo, s2
	s_delay_alu instid0(SALU_CYCLE_1)
	s_mov_b32 s2, exec_lo
	v_cmpx_gt_u32_e64 s14, v41
	s_cbranch_execnz .LBB57_157
.LBB57_70:
	s_or_b32 exec_lo, exec_lo, s2
	s_delay_alu instid0(SALU_CYCLE_1)
	s_mov_b32 s2, exec_lo
	v_cmpx_gt_u32_e64 s14, v40
	s_cbranch_execnz .LBB57_158
.LBB57_71:
	s_or_b32 exec_lo, exec_lo, s2
	s_delay_alu instid0(SALU_CYCLE_1)
	s_mov_b32 s2, exec_lo
	v_cmpx_gt_u32_e64 s14, v39
	s_cbranch_execnz .LBB57_159
.LBB57_72:
	s_or_b32 exec_lo, exec_lo, s2
	s_delay_alu instid0(SALU_CYCLE_1)
	s_mov_b32 s2, exec_lo
	v_cmpx_gt_u32_e64 s14, v38
	s_cbranch_execnz .LBB57_160
.LBB57_73:
	s_or_b32 exec_lo, exec_lo, s2
	s_delay_alu instid0(SALU_CYCLE_1)
	s_mov_b32 s2, exec_lo
	v_cmpx_gt_u32_e64 s14, v37
	s_cbranch_execnz .LBB57_161
.LBB57_74:
	s_or_b32 exec_lo, exec_lo, s2
	s_delay_alu instid0(SALU_CYCLE_1)
	s_mov_b32 s2, exec_lo
	v_cmpx_gt_u32_e64 s14, v36
	s_cbranch_execnz .LBB57_162
.LBB57_75:
	s_or_b32 exec_lo, exec_lo, s2
	s_delay_alu instid0(SALU_CYCLE_1)
	s_mov_b32 s2, exec_lo
	v_cmpx_gt_u32_e64 s14, v35
	s_cbranch_execnz .LBB57_163
.LBB57_76:
	s_or_b32 exec_lo, exec_lo, s2
	s_delay_alu instid0(SALU_CYCLE_1)
	s_mov_b32 s2, exec_lo
	v_cmpx_gt_u32_e64 s14, v34
	s_cbranch_execnz .LBB57_164
.LBB57_77:
	s_or_b32 exec_lo, exec_lo, s2
	s_delay_alu instid0(SALU_CYCLE_1)
	s_mov_b32 s2, exec_lo
	v_cmpx_gt_u32_e64 s14, v33
	s_cbranch_execz .LBB57_79
.LBB57_78:
	s_waitcnt lgkmcnt(0)
	global_store_b32 v[2:3], v19, off offset:3840
.LBB57_79:
	s_or_b32 exec_lo, exec_lo, s2
	s_load_b32 s0, s[0:1], 0x40
	s_waitcnt lgkmcnt(0)
	s_bfe_u32 s0, s0, 0x10008
	s_delay_alu instid0(SALU_CYCLE_1)
	s_cmp_eq_u32 s0, 0
	s_cbranch_scc1 .LBB57_134
; %bb.80:
	s_add_u32 s0, s14, -1
	s_addc_u32 s1, s33, -1
	s_delay_alu instid0(SALU_CYCLE_1)
	s_lshr_b64 s[2:3], s[0:1], 4
	s_mov_b32 s1, exec_lo
	v_cmpx_eq_u64_e64 s[2:3], v[0:1]
	s_cbranch_execz .LBB57_134
; %bb.81:
	s_and_b32 s0, s0, 15
	s_mov_b32 s1, 0
	s_delay_alu instid0(SALU_CYCLE_1) | instskip(NEXT) | instid1(VALU_DEP_1)
	v_cmp_lt_i64_e64 s2, s[0:1], 8
	s_and_b32 vcc_lo, exec_lo, s2
	s_mov_b32 s2, -1
	s_cbranch_vccnz .LBB57_108
; %bb.82:
	v_cmp_lt_i64_e64 s2, s[0:1], 12
	s_delay_alu instid0(VALU_DEP_1)
	s_and_b32 vcc_lo, exec_lo, s2
	s_mov_b32 s2, -1
	s_cbranch_vccnz .LBB57_95
; %bb.83:
	v_cmp_lt_i64_e64 s2, s[0:1], 14
	s_delay_alu instid0(VALU_DEP_1)
	s_and_b32 vcc_lo, exec_lo, s2
	s_mov_b32 s2, -1
	s_cbranch_vccnz .LBB57_89
; %bb.84:
	v_cmp_gt_i64_e64 s2, s[0:1], 14
	s_delay_alu instid0(VALU_DEP_1)
	s_and_b32 vcc_lo, exec_lo, s2
	s_mov_b32 s2, -1
	s_cbranch_vccz .LBB57_86
; %bb.85:
	v_mov_b32_e32 v0, 0
	s_mov_b32 s2, 0
	global_store_b32 v0, v19, s[10:11]
.LBB57_86:
	s_and_not1_b32 vcc_lo, exec_lo, s2
	s_cbranch_vccnz .LBB57_88
; %bb.87:
	v_mov_b32_e32 v0, 0
	global_store_b32 v0, v18, s[10:11]
.LBB57_88:
	s_mov_b32 s2, 0
.LBB57_89:
	s_delay_alu instid0(SALU_CYCLE_1)
	s_and_not1_b32 vcc_lo, exec_lo, s2
	s_cbranch_vccnz .LBB57_94
; %bb.90:
	v_cmp_gt_i64_e64 s2, s[0:1], 12
	s_delay_alu instid0(VALU_DEP_1)
	s_and_b32 vcc_lo, exec_lo, s2
	s_mov_b32 s2, -1
	s_cbranch_vccz .LBB57_92
; %bb.91:
	v_mov_b32_e32 v0, 0
	s_mov_b32 s2, 0
	global_store_b32 v0, v17, s[10:11]
.LBB57_92:
	s_and_not1_b32 vcc_lo, exec_lo, s2
	s_cbranch_vccnz .LBB57_94
; %bb.93:
	v_mov_b32_e32 v0, 0
	global_store_b32 v0, v16, s[10:11]
.LBB57_94:
	s_mov_b32 s2, 0
.LBB57_95:
	s_delay_alu instid0(SALU_CYCLE_1)
	s_and_not1_b32 vcc_lo, exec_lo, s2
	s_cbranch_vccnz .LBB57_107
; %bb.96:
	v_cmp_lt_i64_e64 s2, s[0:1], 10
	s_delay_alu instid0(VALU_DEP_1)
	s_and_b32 vcc_lo, exec_lo, s2
	s_mov_b32 s2, -1
	s_cbranch_vccnz .LBB57_102
; %bb.97:
	v_cmp_gt_i64_e64 s2, s[0:1], 10
	s_delay_alu instid0(VALU_DEP_1)
	s_and_b32 vcc_lo, exec_lo, s2
	s_mov_b32 s2, -1
	s_cbranch_vccz .LBB57_99
; %bb.98:
	v_mov_b32_e32 v0, 0
	s_mov_b32 s2, 0
	global_store_b32 v0, v15, s[10:11]
.LBB57_99:
	s_and_not1_b32 vcc_lo, exec_lo, s2
	s_cbranch_vccnz .LBB57_101
; %bb.100:
	v_mov_b32_e32 v0, 0
	global_store_b32 v0, v14, s[10:11]
.LBB57_101:
	s_mov_b32 s2, 0
.LBB57_102:
	s_delay_alu instid0(SALU_CYCLE_1)
	s_and_not1_b32 vcc_lo, exec_lo, s2
	s_cbranch_vccnz .LBB57_107
; %bb.103:
	v_cmp_gt_i64_e64 s2, s[0:1], 8
	s_delay_alu instid0(VALU_DEP_1)
	s_and_b32 vcc_lo, exec_lo, s2
	s_mov_b32 s2, -1
	s_cbranch_vccz .LBB57_105
; %bb.104:
	v_mov_b32_e32 v0, 0
	s_mov_b32 s2, 0
	global_store_b32 v0, v13, s[10:11]
.LBB57_105:
	s_and_not1_b32 vcc_lo, exec_lo, s2
	s_cbranch_vccnz .LBB57_107
; %bb.106:
	v_mov_b32_e32 v0, 0
	global_store_b32 v0, v12, s[10:11]
.LBB57_107:
	s_mov_b32 s2, 0
.LBB57_108:
	s_delay_alu instid0(SALU_CYCLE_1)
	s_and_not1_b32 vcc_lo, exec_lo, s2
	s_cbranch_vccnz .LBB57_134
; %bb.109:
	v_cmp_lt_i64_e64 s2, s[0:1], 4
	s_delay_alu instid0(VALU_DEP_1)
	s_and_b32 vcc_lo, exec_lo, s2
	s_mov_b32 s2, -1
	s_cbranch_vccnz .LBB57_122
; %bb.110:
	v_cmp_lt_i64_e64 s2, s[0:1], 6
	s_delay_alu instid0(VALU_DEP_1)
	s_and_b32 vcc_lo, exec_lo, s2
	s_mov_b32 s2, -1
	s_cbranch_vccnz .LBB57_116
; %bb.111:
	v_cmp_gt_i64_e64 s2, s[0:1], 6
	s_delay_alu instid0(VALU_DEP_1)
	s_and_b32 vcc_lo, exec_lo, s2
	s_mov_b32 s2, -1
	s_cbranch_vccz .LBB57_113
; %bb.112:
	v_mov_b32_e32 v0, 0
	s_mov_b32 s2, 0
	global_store_b32 v0, v11, s[10:11]
.LBB57_113:
	s_and_not1_b32 vcc_lo, exec_lo, s2
	s_cbranch_vccnz .LBB57_115
; %bb.114:
	v_mov_b32_e32 v0, 0
	global_store_b32 v0, v10, s[10:11]
.LBB57_115:
	s_mov_b32 s2, 0
.LBB57_116:
	s_delay_alu instid0(SALU_CYCLE_1)
	s_and_not1_b32 vcc_lo, exec_lo, s2
	s_cbranch_vccnz .LBB57_121
; %bb.117:
	v_cmp_gt_i64_e64 s2, s[0:1], 4
	s_delay_alu instid0(VALU_DEP_1)
	s_and_b32 vcc_lo, exec_lo, s2
	s_mov_b32 s2, -1
	s_cbranch_vccz .LBB57_119
; %bb.118:
	v_mov_b32_e32 v0, 0
	s_mov_b32 s2, 0
	global_store_b32 v0, v9, s[10:11]
.LBB57_119:
	s_and_not1_b32 vcc_lo, exec_lo, s2
	s_cbranch_vccnz .LBB57_121
; %bb.120:
	v_mov_b32_e32 v0, 0
	global_store_b32 v0, v8, s[10:11]
.LBB57_121:
	s_mov_b32 s2, 0
.LBB57_122:
	s_delay_alu instid0(SALU_CYCLE_1)
	s_and_not1_b32 vcc_lo, exec_lo, s2
	s_cbranch_vccnz .LBB57_134
; %bb.123:
	v_cmp_lt_i64_e64 s2, s[0:1], 2
	s_delay_alu instid0(VALU_DEP_1)
	s_and_b32 vcc_lo, exec_lo, s2
	s_mov_b32 s2, -1
	s_cbranch_vccnz .LBB57_129
; %bb.124:
	v_cmp_gt_i64_e64 s2, s[0:1], 2
	s_delay_alu instid0(VALU_DEP_1)
	s_and_b32 vcc_lo, exec_lo, s2
	s_mov_b32 s2, -1
	s_cbranch_vccz .LBB57_126
; %bb.125:
	v_mov_b32_e32 v0, 0
	s_mov_b32 s2, 0
	global_store_b32 v0, v7, s[10:11]
.LBB57_126:
	s_and_not1_b32 vcc_lo, exec_lo, s2
	s_cbranch_vccnz .LBB57_128
; %bb.127:
	v_mov_b32_e32 v0, 0
	global_store_b32 v0, v6, s[10:11]
.LBB57_128:
	s_mov_b32 s2, 0
.LBB57_129:
	s_delay_alu instid0(SALU_CYCLE_1)
	s_and_not1_b32 vcc_lo, exec_lo, s2
	s_cbranch_vccnz .LBB57_134
; %bb.130:
	s_cmp_eq_u64 s[0:1], 1
	s_mov_b32 s0, -1
	s_cbranch_scc1 .LBB57_132
; %bb.131:
	v_mov_b32_e32 v0, 0
	s_mov_b32 s0, 0
	global_store_b32 v0, v5, s[10:11]
.LBB57_132:
	s_and_not1_b32 vcc_lo, exec_lo, s0
	s_cbranch_vccnz .LBB57_134
; %bb.133:
	v_mov_b32_e32 v0, 0
	global_store_b32 v0, v4, s[10:11]
.LBB57_134:
	s_nop 0
	s_sendmsg sendmsg(MSG_DEALLOC_VGPRS)
	s_endpgm
.LBB57_135:
	global_load_b32 v20, v[17:18], off
	v_dual_mov_b32 v1, s16 :: v_dual_mov_b32 v2, s17
	v_dual_mov_b32 v3, s18 :: v_dual_mov_b32 v4, s19
	;; [unrolled: 1-line block ×8, first 2 shown]
                                        ; kill: def $vgpr1 killed $vgpr20 killed $exec
	s_or_b32 exec_lo, exec_lo, s3
	s_delay_alu instid0(SALU_CYCLE_1)
	s_mov_b32 s2, exec_lo
	v_cmpx_gt_u32_e64 s14, v47
	s_cbranch_execz .LBB57_5
.LBB57_136:
	global_load_b32 v2, v[17:18], off offset:256
	s_or_b32 exec_lo, exec_lo, s2
	s_delay_alu instid0(SALU_CYCLE_1)
	s_mov_b32 s2, exec_lo
	v_cmpx_gt_u32_e64 s14, v46
	s_cbranch_execz .LBB57_6
.LBB57_137:
	global_load_b32 v3, v[17:18], off offset:512
	s_or_b32 exec_lo, exec_lo, s2
	s_delay_alu instid0(SALU_CYCLE_1)
	s_mov_b32 s2, exec_lo
	v_cmpx_gt_u32_e64 s14, v45
	s_cbranch_execz .LBB57_7
.LBB57_138:
	global_load_b32 v4, v[17:18], off offset:768
	s_or_b32 exec_lo, exec_lo, s2
	s_delay_alu instid0(SALU_CYCLE_1)
	s_mov_b32 s2, exec_lo
	v_cmpx_gt_u32_e64 s14, v44
	s_cbranch_execz .LBB57_8
.LBB57_139:
	global_load_b32 v5, v[17:18], off offset:1024
	s_or_b32 exec_lo, exec_lo, s2
	s_delay_alu instid0(SALU_CYCLE_1)
	s_mov_b32 s2, exec_lo
	v_cmpx_gt_u32_e64 s14, v43
	s_cbranch_execz .LBB57_9
.LBB57_140:
	global_load_b32 v6, v[17:18], off offset:1280
	s_or_b32 exec_lo, exec_lo, s2
	s_delay_alu instid0(SALU_CYCLE_1)
	s_mov_b32 s2, exec_lo
	v_cmpx_gt_u32_e64 s14, v42
	s_cbranch_execz .LBB57_10
.LBB57_141:
	global_load_b32 v7, v[17:18], off offset:1536
	s_or_b32 exec_lo, exec_lo, s2
	s_delay_alu instid0(SALU_CYCLE_1)
	s_mov_b32 s2, exec_lo
	v_cmpx_gt_u32_e64 s14, v41
	s_cbranch_execz .LBB57_11
.LBB57_142:
	global_load_b32 v8, v[17:18], off offset:1792
	s_or_b32 exec_lo, exec_lo, s2
	s_delay_alu instid0(SALU_CYCLE_1)
	s_mov_b32 s2, exec_lo
	v_cmpx_gt_u32_e64 s14, v40
	s_cbranch_execz .LBB57_12
.LBB57_143:
	global_load_b32 v9, v[17:18], off offset:2048
	s_or_b32 exec_lo, exec_lo, s2
	s_delay_alu instid0(SALU_CYCLE_1)
	s_mov_b32 s2, exec_lo
	v_cmpx_gt_u32_e64 s14, v39
	s_cbranch_execz .LBB57_13
.LBB57_144:
	global_load_b32 v10, v[17:18], off offset:2304
	s_or_b32 exec_lo, exec_lo, s2
	s_delay_alu instid0(SALU_CYCLE_1)
	s_mov_b32 s2, exec_lo
	v_cmpx_gt_u32_e64 s14, v38
	s_cbranch_execz .LBB57_14
.LBB57_145:
	global_load_b32 v11, v[17:18], off offset:2560
	s_or_b32 exec_lo, exec_lo, s2
	s_delay_alu instid0(SALU_CYCLE_1)
	s_mov_b32 s2, exec_lo
	v_cmpx_gt_u32_e64 s14, v37
	s_cbranch_execz .LBB57_15
.LBB57_146:
	global_load_b32 v12, v[17:18], off offset:2816
	s_or_b32 exec_lo, exec_lo, s2
	s_delay_alu instid0(SALU_CYCLE_1)
	s_mov_b32 s2, exec_lo
	v_cmpx_gt_u32_e64 s14, v36
	s_cbranch_execz .LBB57_16
.LBB57_147:
	global_load_b32 v13, v[17:18], off offset:3072
	s_or_b32 exec_lo, exec_lo, s2
	s_delay_alu instid0(SALU_CYCLE_1)
	s_mov_b32 s2, exec_lo
	v_cmpx_gt_u32_e64 s14, v35
	s_cbranch_execz .LBB57_17
.LBB57_148:
	global_load_b32 v14, v[17:18], off offset:3328
	s_or_b32 exec_lo, exec_lo, s2
	s_delay_alu instid0(SALU_CYCLE_1)
	s_mov_b32 s2, exec_lo
	v_cmpx_gt_u32_e64 s14, v34
	s_cbranch_execz .LBB57_18
.LBB57_149:
	global_load_b32 v15, v[17:18], off offset:3584
	s_or_b32 exec_lo, exec_lo, s2
	s_delay_alu instid0(SALU_CYCLE_1)
	s_mov_b32 s2, exec_lo
	v_cmpx_gt_u32_e64 s14, v33
	s_cbranch_execnz .LBB57_19
	s_branch .LBB57_20
.LBB57_150:
	s_waitcnt lgkmcnt(15)
	global_store_b32 v[2:3], v5, off
	s_or_b32 exec_lo, exec_lo, s2
	s_delay_alu instid0(SALU_CYCLE_1)
	s_mov_b32 s2, exec_lo
	v_cmpx_gt_u32_e64 s14, v47
	s_cbranch_execz .LBB57_64
.LBB57_151:
	s_waitcnt lgkmcnt(14)
	global_store_b32 v[2:3], v4, off offset:256
	s_or_b32 exec_lo, exec_lo, s2
	s_delay_alu instid0(SALU_CYCLE_1)
	s_mov_b32 s2, exec_lo
	v_cmpx_gt_u32_e64 s14, v46
	s_cbranch_execz .LBB57_65
.LBB57_152:
	s_waitcnt lgkmcnt(13)
	global_store_b32 v[2:3], v6, off offset:512
	s_or_b32 exec_lo, exec_lo, s2
	s_delay_alu instid0(SALU_CYCLE_1)
	s_mov_b32 s2, exec_lo
	v_cmpx_gt_u32_e64 s14, v45
	s_cbranch_execz .LBB57_66
.LBB57_153:
	s_waitcnt lgkmcnt(12)
	global_store_b32 v[2:3], v7, off offset:768
	s_or_b32 exec_lo, exec_lo, s2
	s_delay_alu instid0(SALU_CYCLE_1)
	s_mov_b32 s2, exec_lo
	v_cmpx_gt_u32_e64 s14, v44
	s_cbranch_execz .LBB57_67
.LBB57_154:
	s_waitcnt lgkmcnt(11)
	global_store_b32 v[2:3], v8, off offset:1024
	s_or_b32 exec_lo, exec_lo, s2
	s_delay_alu instid0(SALU_CYCLE_1)
	s_mov_b32 s2, exec_lo
	v_cmpx_gt_u32_e64 s14, v43
	s_cbranch_execz .LBB57_68
.LBB57_155:
	s_waitcnt lgkmcnt(10)
	global_store_b32 v[2:3], v9, off offset:1280
	s_or_b32 exec_lo, exec_lo, s2
	s_delay_alu instid0(SALU_CYCLE_1)
	s_mov_b32 s2, exec_lo
	v_cmpx_gt_u32_e64 s14, v42
	s_cbranch_execz .LBB57_69
.LBB57_156:
	s_waitcnt lgkmcnt(9)
	global_store_b32 v[2:3], v10, off offset:1536
	s_or_b32 exec_lo, exec_lo, s2
	s_delay_alu instid0(SALU_CYCLE_1)
	s_mov_b32 s2, exec_lo
	v_cmpx_gt_u32_e64 s14, v41
	s_cbranch_execz .LBB57_70
.LBB57_157:
	s_waitcnt lgkmcnt(8)
	global_store_b32 v[2:3], v11, off offset:1792
	s_or_b32 exec_lo, exec_lo, s2
	s_delay_alu instid0(SALU_CYCLE_1)
	s_mov_b32 s2, exec_lo
	v_cmpx_gt_u32_e64 s14, v40
	s_cbranch_execz .LBB57_71
.LBB57_158:
	s_waitcnt lgkmcnt(7)
	global_store_b32 v[2:3], v12, off offset:2048
	s_or_b32 exec_lo, exec_lo, s2
	s_delay_alu instid0(SALU_CYCLE_1)
	s_mov_b32 s2, exec_lo
	v_cmpx_gt_u32_e64 s14, v39
	s_cbranch_execz .LBB57_72
.LBB57_159:
	s_waitcnt lgkmcnt(6)
	global_store_b32 v[2:3], v13, off offset:2304
	s_or_b32 exec_lo, exec_lo, s2
	s_delay_alu instid0(SALU_CYCLE_1)
	s_mov_b32 s2, exec_lo
	v_cmpx_gt_u32_e64 s14, v38
	s_cbranch_execz .LBB57_73
.LBB57_160:
	s_waitcnt lgkmcnt(5)
	global_store_b32 v[2:3], v14, off offset:2560
	s_or_b32 exec_lo, exec_lo, s2
	s_delay_alu instid0(SALU_CYCLE_1)
	s_mov_b32 s2, exec_lo
	v_cmpx_gt_u32_e64 s14, v37
	s_cbranch_execz .LBB57_74
.LBB57_161:
	s_waitcnt lgkmcnt(4)
	global_store_b32 v[2:3], v15, off offset:2816
	s_or_b32 exec_lo, exec_lo, s2
	s_delay_alu instid0(SALU_CYCLE_1)
	s_mov_b32 s2, exec_lo
	v_cmpx_gt_u32_e64 s14, v36
	s_cbranch_execz .LBB57_75
.LBB57_162:
	s_waitcnt lgkmcnt(3)
	global_store_b32 v[2:3], v16, off offset:3072
	s_or_b32 exec_lo, exec_lo, s2
	s_delay_alu instid0(SALU_CYCLE_1)
	s_mov_b32 s2, exec_lo
	v_cmpx_gt_u32_e64 s14, v35
	s_cbranch_execz .LBB57_76
.LBB57_163:
	s_waitcnt lgkmcnt(2)
	global_store_b32 v[2:3], v17, off offset:3328
	s_or_b32 exec_lo, exec_lo, s2
	s_delay_alu instid0(SALU_CYCLE_1)
	s_mov_b32 s2, exec_lo
	v_cmpx_gt_u32_e64 s14, v34
	s_cbranch_execz .LBB57_77
.LBB57_164:
	s_waitcnt lgkmcnt(1)
	global_store_b32 v[2:3], v18, off offset:3584
	s_or_b32 exec_lo, exec_lo, s2
	s_delay_alu instid0(SALU_CYCLE_1)
	s_mov_b32 s2, exec_lo
	v_cmpx_gt_u32_e64 s14, v33
	s_cbranch_execnz .LBB57_78
	s_branch .LBB57_79
	.section	.rodata,"a",@progbits
	.p2align	6, 0x0
	.amdhsa_kernel _ZN7rocprim17ROCPRIM_304000_NS6detail20lookback_scan_kernelILNS1_25lookback_scan_determinismE0ELb0ENS1_19wrapped_scan_configINS0_14default_configEfEEPKfPfSt10multipliesIfEffNS1_19lookback_scan_stateIfLb0ELb1EEEEEvT2_T3_mT5_T4_T7_jPT6_SK_bb
		.amdhsa_group_segment_fixed_size 4224
		.amdhsa_private_segment_fixed_size 0
		.amdhsa_kernarg_size 68
		.amdhsa_user_sgpr_count 15
		.amdhsa_user_sgpr_dispatch_ptr 0
		.amdhsa_user_sgpr_queue_ptr 0
		.amdhsa_user_sgpr_kernarg_segment_ptr 1
		.amdhsa_user_sgpr_dispatch_id 0
		.amdhsa_user_sgpr_private_segment_size 0
		.amdhsa_wavefront_size32 1
		.amdhsa_uses_dynamic_stack 0
		.amdhsa_enable_private_segment 0
		.amdhsa_system_sgpr_workgroup_id_x 1
		.amdhsa_system_sgpr_workgroup_id_y 0
		.amdhsa_system_sgpr_workgroup_id_z 0
		.amdhsa_system_sgpr_workgroup_info 0
		.amdhsa_system_vgpr_workitem_id 0
		.amdhsa_next_free_vgpr 59
		.amdhsa_next_free_sgpr 35
		.amdhsa_reserve_vcc 1
		.amdhsa_float_round_mode_32 0
		.amdhsa_float_round_mode_16_64 0
		.amdhsa_float_denorm_mode_32 3
		.amdhsa_float_denorm_mode_16_64 3
		.amdhsa_dx10_clamp 1
		.amdhsa_ieee_mode 1
		.amdhsa_fp16_overflow 0
		.amdhsa_workgroup_processor_mode 1
		.amdhsa_memory_ordered 1
		.amdhsa_forward_progress 0
		.amdhsa_shared_vgpr_count 0
		.amdhsa_exception_fp_ieee_invalid_op 0
		.amdhsa_exception_fp_denorm_src 0
		.amdhsa_exception_fp_ieee_div_zero 0
		.amdhsa_exception_fp_ieee_overflow 0
		.amdhsa_exception_fp_ieee_underflow 0
		.amdhsa_exception_fp_ieee_inexact 0
		.amdhsa_exception_int_div_zero 0
	.end_amdhsa_kernel
	.section	.text._ZN7rocprim17ROCPRIM_304000_NS6detail20lookback_scan_kernelILNS1_25lookback_scan_determinismE0ELb0ENS1_19wrapped_scan_configINS0_14default_configEfEEPKfPfSt10multipliesIfEffNS1_19lookback_scan_stateIfLb0ELb1EEEEEvT2_T3_mT5_T4_T7_jPT6_SK_bb,"axG",@progbits,_ZN7rocprim17ROCPRIM_304000_NS6detail20lookback_scan_kernelILNS1_25lookback_scan_determinismE0ELb0ENS1_19wrapped_scan_configINS0_14default_configEfEEPKfPfSt10multipliesIfEffNS1_19lookback_scan_stateIfLb0ELb1EEEEEvT2_T3_mT5_T4_T7_jPT6_SK_bb,comdat
.Lfunc_end57:
	.size	_ZN7rocprim17ROCPRIM_304000_NS6detail20lookback_scan_kernelILNS1_25lookback_scan_determinismE0ELb0ENS1_19wrapped_scan_configINS0_14default_configEfEEPKfPfSt10multipliesIfEffNS1_19lookback_scan_stateIfLb0ELb1EEEEEvT2_T3_mT5_T4_T7_jPT6_SK_bb, .Lfunc_end57-_ZN7rocprim17ROCPRIM_304000_NS6detail20lookback_scan_kernelILNS1_25lookback_scan_determinismE0ELb0ENS1_19wrapped_scan_configINS0_14default_configEfEEPKfPfSt10multipliesIfEffNS1_19lookback_scan_stateIfLb0ELb1EEEEEvT2_T3_mT5_T4_T7_jPT6_SK_bb
                                        ; -- End function
	.section	.AMDGPU.csdata,"",@progbits
; Kernel info:
; codeLenInByte = 7520
; NumSgprs: 37
; NumVgprs: 59
; ScratchSize: 0
; MemoryBound: 0
; FloatMode: 240
; IeeeMode: 1
; LDSByteSize: 4224 bytes/workgroup (compile time only)
; SGPRBlocks: 4
; VGPRBlocks: 7
; NumSGPRsForWavesPerEU: 37
; NumVGPRsForWavesPerEU: 59
; Occupancy: 16
; WaveLimiterHint : 1
; COMPUTE_PGM_RSRC2:SCRATCH_EN: 0
; COMPUTE_PGM_RSRC2:USER_SGPR: 15
; COMPUTE_PGM_RSRC2:TRAP_HANDLER: 0
; COMPUTE_PGM_RSRC2:TGID_X_EN: 1
; COMPUTE_PGM_RSRC2:TGID_Y_EN: 0
; COMPUTE_PGM_RSRC2:TGID_Z_EN: 0
; COMPUTE_PGM_RSRC2:TIDIG_COMP_CNT: 0
	.section	.text._ZN7rocprim17ROCPRIM_304000_NS6detail16transform_kernelINS1_24wrapped_transform_configINS0_14default_configEfEEfPfS6_NS0_8identityIfEEEEvT1_mT2_T3_,"axG",@progbits,_ZN7rocprim17ROCPRIM_304000_NS6detail16transform_kernelINS1_24wrapped_transform_configINS0_14default_configEfEEfPfS6_NS0_8identityIfEEEEvT1_mT2_T3_,comdat
	.protected	_ZN7rocprim17ROCPRIM_304000_NS6detail16transform_kernelINS1_24wrapped_transform_configINS0_14default_configEfEEfPfS6_NS0_8identityIfEEEEvT1_mT2_T3_ ; -- Begin function _ZN7rocprim17ROCPRIM_304000_NS6detail16transform_kernelINS1_24wrapped_transform_configINS0_14default_configEfEEfPfS6_NS0_8identityIfEEEEvT1_mT2_T3_
	.globl	_ZN7rocprim17ROCPRIM_304000_NS6detail16transform_kernelINS1_24wrapped_transform_configINS0_14default_configEfEEfPfS6_NS0_8identityIfEEEEvT1_mT2_T3_
	.p2align	8
	.type	_ZN7rocprim17ROCPRIM_304000_NS6detail16transform_kernelINS1_24wrapped_transform_configINS0_14default_configEfEEfPfS6_NS0_8identityIfEEEEvT1_mT2_T3_,@function
_ZN7rocprim17ROCPRIM_304000_NS6detail16transform_kernelINS1_24wrapped_transform_configINS0_14default_configEfEEfPfS6_NS0_8identityIfEEEEvT1_mT2_T3_: ; @_ZN7rocprim17ROCPRIM_304000_NS6detail16transform_kernelINS1_24wrapped_transform_configINS0_14default_configEfEEfPfS6_NS0_8identityIfEEEEvT1_mT2_T3_
; %bb.0:
	s_clause 0x2
	s_load_b32 s3, s[0:1], 0x20
	s_load_b128 s[4:7], s[0:1], 0x0
	s_load_b64 s[0:1], s[0:1], 0x10
	v_lshlrev_b32_e32 v1, 2, v0
	s_lshl_b32 s2, s15, 10
	s_waitcnt lgkmcnt(0)
	s_add_i32 s7, s3, -1
	s_mov_b32 s3, 0
	s_cmp_lg_u32 s15, s7
	s_mov_b32 s7, -1
	s_cbranch_scc0 .LBB58_2
; %bb.1:
	s_lshl_b64 s[8:9], s[2:3], 2
	s_mov_b32 s7, s3
	s_add_u32 s10, s4, s8
	s_addc_u32 s11, s5, s9
	s_add_u32 s8, s0, s8
	global_load_b32 v2, v1, s[10:11]
	s_addc_u32 s9, s1, s9
	s_waitcnt vmcnt(0)
	global_store_b32 v1, v2, s[8:9]
.LBB58_2:
	s_and_not1_b32 vcc_lo, exec_lo, s7
	s_cbranch_vccnz .LBB58_7
; %bb.3:
	s_sub_i32 s6, s6, s2
	s_delay_alu instid0(SALU_CYCLE_1)
	v_cmp_gt_u32_e32 vcc_lo, s6, v0
                                        ; implicit-def: $vgpr0
	s_and_saveexec_b32 s6, vcc_lo
	s_cbranch_execz .LBB58_5
; %bb.4:
	s_lshl_b64 s[8:9], s[2:3], 2
	s_delay_alu instid0(SALU_CYCLE_1)
	s_add_u32 s4, s4, s8
	s_addc_u32 s5, s5, s9
	global_load_b32 v0, v1, s[4:5]
.LBB58_5:
	s_or_b32 exec_lo, exec_lo, s6
	s_and_saveexec_b32 s4, vcc_lo
	s_cbranch_execz .LBB58_7
; %bb.6:
	s_lshl_b64 s[2:3], s[2:3], 2
	s_delay_alu instid0(SALU_CYCLE_1)
	s_add_u32 s0, s0, s2
	s_addc_u32 s1, s1, s3
	s_waitcnt vmcnt(0)
	global_store_b32 v1, v0, s[0:1]
.LBB58_7:
	s_nop 0
	s_sendmsg sendmsg(MSG_DEALLOC_VGPRS)
	s_endpgm
	.section	.rodata,"a",@progbits
	.p2align	6, 0x0
	.amdhsa_kernel _ZN7rocprim17ROCPRIM_304000_NS6detail16transform_kernelINS1_24wrapped_transform_configINS0_14default_configEfEEfPfS6_NS0_8identityIfEEEEvT1_mT2_T3_
		.amdhsa_group_segment_fixed_size 0
		.amdhsa_private_segment_fixed_size 0
		.amdhsa_kernarg_size 288
		.amdhsa_user_sgpr_count 15
		.amdhsa_user_sgpr_dispatch_ptr 0
		.amdhsa_user_sgpr_queue_ptr 0
		.amdhsa_user_sgpr_kernarg_segment_ptr 1
		.amdhsa_user_sgpr_dispatch_id 0
		.amdhsa_user_sgpr_private_segment_size 0
		.amdhsa_wavefront_size32 1
		.amdhsa_uses_dynamic_stack 0
		.amdhsa_enable_private_segment 0
		.amdhsa_system_sgpr_workgroup_id_x 1
		.amdhsa_system_sgpr_workgroup_id_y 0
		.amdhsa_system_sgpr_workgroup_id_z 0
		.amdhsa_system_sgpr_workgroup_info 0
		.amdhsa_system_vgpr_workitem_id 0
		.amdhsa_next_free_vgpr 3
		.amdhsa_next_free_sgpr 16
		.amdhsa_reserve_vcc 1
		.amdhsa_float_round_mode_32 0
		.amdhsa_float_round_mode_16_64 0
		.amdhsa_float_denorm_mode_32 3
		.amdhsa_float_denorm_mode_16_64 3
		.amdhsa_dx10_clamp 1
		.amdhsa_ieee_mode 1
		.amdhsa_fp16_overflow 0
		.amdhsa_workgroup_processor_mode 1
		.amdhsa_memory_ordered 1
		.amdhsa_forward_progress 0
		.amdhsa_shared_vgpr_count 0
		.amdhsa_exception_fp_ieee_invalid_op 0
		.amdhsa_exception_fp_denorm_src 0
		.amdhsa_exception_fp_ieee_div_zero 0
		.amdhsa_exception_fp_ieee_overflow 0
		.amdhsa_exception_fp_ieee_underflow 0
		.amdhsa_exception_fp_ieee_inexact 0
		.amdhsa_exception_int_div_zero 0
	.end_amdhsa_kernel
	.section	.text._ZN7rocprim17ROCPRIM_304000_NS6detail16transform_kernelINS1_24wrapped_transform_configINS0_14default_configEfEEfPfS6_NS0_8identityIfEEEEvT1_mT2_T3_,"axG",@progbits,_ZN7rocprim17ROCPRIM_304000_NS6detail16transform_kernelINS1_24wrapped_transform_configINS0_14default_configEfEEfPfS6_NS0_8identityIfEEEEvT1_mT2_T3_,comdat
.Lfunc_end58:
	.size	_ZN7rocprim17ROCPRIM_304000_NS6detail16transform_kernelINS1_24wrapped_transform_configINS0_14default_configEfEEfPfS6_NS0_8identityIfEEEEvT1_mT2_T3_, .Lfunc_end58-_ZN7rocprim17ROCPRIM_304000_NS6detail16transform_kernelINS1_24wrapped_transform_configINS0_14default_configEfEEfPfS6_NS0_8identityIfEEEEvT1_mT2_T3_
                                        ; -- End function
	.section	.AMDGPU.csdata,"",@progbits
; Kernel info:
; codeLenInByte = 208
; NumSgprs: 18
; NumVgprs: 3
; ScratchSize: 0
; MemoryBound: 0
; FloatMode: 240
; IeeeMode: 1
; LDSByteSize: 0 bytes/workgroup (compile time only)
; SGPRBlocks: 2
; VGPRBlocks: 0
; NumSGPRsForWavesPerEU: 18
; NumVGPRsForWavesPerEU: 3
; Occupancy: 16
; WaveLimiterHint : 0
; COMPUTE_PGM_RSRC2:SCRATCH_EN: 0
; COMPUTE_PGM_RSRC2:USER_SGPR: 15
; COMPUTE_PGM_RSRC2:TRAP_HANDLER: 0
; COMPUTE_PGM_RSRC2:TGID_X_EN: 1
; COMPUTE_PGM_RSRC2:TGID_Y_EN: 0
; COMPUTE_PGM_RSRC2:TGID_Z_EN: 0
; COMPUTE_PGM_RSRC2:TIDIG_COMP_CNT: 0
	.section	.text._ZN7rocprim17ROCPRIM_304000_NS6detail18single_scan_kernelILb0ENS1_19wrapped_scan_configINS0_14default_configEfEEPKfPfSt10multipliesIfEffEEvT1_mT4_T2_T3_,"axG",@progbits,_ZN7rocprim17ROCPRIM_304000_NS6detail18single_scan_kernelILb0ENS1_19wrapped_scan_configINS0_14default_configEfEEPKfPfSt10multipliesIfEffEEvT1_mT4_T2_T3_,comdat
	.protected	_ZN7rocprim17ROCPRIM_304000_NS6detail18single_scan_kernelILb0ENS1_19wrapped_scan_configINS0_14default_configEfEEPKfPfSt10multipliesIfEffEEvT1_mT4_T2_T3_ ; -- Begin function _ZN7rocprim17ROCPRIM_304000_NS6detail18single_scan_kernelILb0ENS1_19wrapped_scan_configINS0_14default_configEfEEPKfPfSt10multipliesIfEffEEvT1_mT4_T2_T3_
	.globl	_ZN7rocprim17ROCPRIM_304000_NS6detail18single_scan_kernelILb0ENS1_19wrapped_scan_configINS0_14default_configEfEEPKfPfSt10multipliesIfEffEEvT1_mT4_T2_T3_
	.p2align	8
	.type	_ZN7rocprim17ROCPRIM_304000_NS6detail18single_scan_kernelILb0ENS1_19wrapped_scan_configINS0_14default_configEfEEPKfPfSt10multipliesIfEffEEvT1_mT4_T2_T3_,@function
_ZN7rocprim17ROCPRIM_304000_NS6detail18single_scan_kernelILb0ENS1_19wrapped_scan_configINS0_14default_configEfEEPKfPfSt10multipliesIfEffEEvT1_mT4_T2_T3_: ; @_ZN7rocprim17ROCPRIM_304000_NS6detail18single_scan_kernelILb0ENS1_19wrapped_scan_configINS0_14default_configEfEEPKfPfSt10multipliesIfEffEEvT1_mT4_T2_T3_
; %bb.0:
	s_load_b128 s[20:23], s[0:1], 0x0
	s_waitcnt lgkmcnt(0)
	s_load_b32 s4, s[20:21], 0x0
	v_cmp_gt_u32_e32 vcc_lo, s22, v0
	s_waitcnt lgkmcnt(0)
	s_mov_b32 s5, s4
	s_mov_b32 s6, s4
	;; [unrolled: 1-line block ×15, first 2 shown]
	v_lshlrev_b32_e32 v19, 2, v0
	v_dual_mov_b32 v1, s4 :: v_dual_mov_b32 v4, s7
	v_dual_mov_b32 v2, s5 :: v_dual_mov_b32 v3, s6
	v_mov_b32_e32 v6, s9
	s_delay_alu instid0(VALU_DEP_4) | instskip(NEXT) | instid1(VALU_DEP_1)
	v_add_co_u32 v17, s2, s20, v19
	v_add_co_ci_u32_e64 v18, null, s21, 0, s2
	v_dual_mov_b32 v5, s8 :: v_dual_mov_b32 v8, s11
	v_dual_mov_b32 v7, s10 :: v_dual_mov_b32 v10, s13
	;; [unrolled: 1-line block ×6, first 2 shown]
	s_and_saveexec_b32 s2, vcc_lo
	s_cbranch_execz .LBB59_2
; %bb.1:
	global_load_b32 v20, v[17:18], off
	v_dual_mov_b32 v1, s4 :: v_dual_mov_b32 v2, s5
	v_dual_mov_b32 v3, s6 :: v_dual_mov_b32 v4, s7
	;; [unrolled: 1-line block ×8, first 2 shown]
                                        ; kill: def $vgpr1 killed $vgpr20 killed $exec
.LBB59_2:
	s_or_b32 exec_lo, exec_lo, s2
	v_or_b32_e32 v1, 64, v0
	s_delay_alu instid0(VALU_DEP_1) | instskip(NEXT) | instid1(VALU_DEP_1)
	v_cmp_gt_u32_e64 s2, s22, v1
	s_and_saveexec_b32 s3, s2
	s_cbranch_execz .LBB59_4
; %bb.3:
	global_load_b32 v2, v[17:18], off offset:256
.LBB59_4:
	s_or_b32 exec_lo, exec_lo, s3
	v_or_b32_e32 v21, 0x80, v0
	s_delay_alu instid0(VALU_DEP_1) | instskip(NEXT) | instid1(VALU_DEP_1)
	v_cmp_gt_u32_e64 s3, s22, v21
	s_and_saveexec_b32 s4, s3
	s_cbranch_execz .LBB59_6
; %bb.5:
	global_load_b32 v3, v[17:18], off offset:512
.LBB59_6:
	;; [unrolled: 9-line block ×15, first 2 shown]
	s_or_b32 exec_lo, exec_lo, s17
	v_lshrrev_b32_e32 v17, 3, v0
	v_lshrrev_b32_e32 v1, 3, v1
	;; [unrolled: 1-line block ×5, first 2 shown]
	v_and_b32_e32 v29, 4, v17
	v_and_b32_e32 v1, 12, v1
	v_lshrrev_b32_e32 v23, 3, v24
	v_and_b32_e32 v24, 28, v18
	v_and_b32_e32 v22, 60, v22
	v_add_nc_u32_e32 v17, v29, v19
	v_add_nc_u32_e32 v18, v1, v19
	v_and_b32_e32 v1, 28, v21
	v_add_nc_u32_e32 v21, v24, v19
	v_add_nc_u32_e32 v22, v22, v19
	s_waitcnt vmcnt(0)
	ds_store_b32 v17, v20
	ds_store_b32 v18, v2 offset:256
	v_and_b32_e32 v2, 60, v23
	v_add_nc_u32_e32 v20, v1, v19
	v_lshrrev_b32_e32 v1, 3, v25
	ds_store_b32 v21, v3 offset:512
	v_lshrrev_b32_e32 v3, 3, v27
	v_add_nc_u32_e32 v23, v2, v19
	v_lshrrev_b32_e32 v2, 3, v26
	v_and_b32_e32 v1, 60, v1
	ds_store_b32 v20, v4 offset:768
	ds_store_b32 v22, v5 offset:1024
	v_and_b32_e32 v3, 0x7c, v3
	v_lshrrev_b32_e32 v4, 3, v28
	ds_store_b32 v23, v6 offset:1280
	v_add_nc_u32_e32 v24, v1, v19
	v_and_b32_e32 v1, 60, v2
	v_lshrrev_b32_e32 v2, 3, v30
	v_add_nc_u32_e32 v26, v3, v19
	v_lshrrev_b32_e32 v3, 3, v33
	v_and_b32_e32 v4, 0x7c, v4
	v_add_nc_u32_e32 v25, v1, v19
	v_and_b32_e32 v1, 0x7c, v2
	v_lshrrev_b32_e32 v2, 3, v31
	v_and_b32_e32 v3, 0x7c, v3
	v_add_nc_u32_e32 v27, v4, v19
	v_lshrrev_b32_e32 v4, 3, v34
	v_add_nc_u32_e32 v28, v1, v19
	v_and_b32_e32 v1, 0x7c, v2
	v_lshrrev_b32_e32 v2, 3, v32
	v_add_nc_u32_e32 v32, v3, v19
	v_lshrrev_b32_e32 v3, 1, v0
	v_and_b32_e32 v4, 0x7c, v4
	v_add_nc_u32_e32 v30, v1, v19
	v_and_b32_e32 v1, 0x7c, v2
	v_lshrrev_b32_e32 v2, 3, v35
	ds_store_b32 v24, v7 offset:1536
	v_add_nc_u32_e32 v33, v4, v19
	ds_store_b32 v25, v8 offset:1792
	v_add_nc_u32_e32 v31, v1, v19
	v_and_b32_e32 v1, 0x7c, v2
	v_lshlrev_b32_e32 v2, 4, v0
	ds_store_b32 v26, v9 offset:2048
	ds_store_b32 v27, v10 offset:2304
	ds_store_b32 v28, v11 offset:2560
	ds_store_b32 v30, v12 offset:2816
	v_add_nc_u32_e32 v34, v1, v19
	v_add_lshl_u32 v35, v3, v2, 2
	ds_store_b32 v31, v13 offset:3072
	ds_store_b32 v32, v14 offset:3328
	;; [unrolled: 1-line block ×3, first 2 shown]
	v_or_b32_e32 v40, 31, v0
	s_mov_b32 s18, exec_lo
	ds_store_b32 v34, v16 offset:3840
	s_waitcnt lgkmcnt(0)
	s_barrier
	buffer_gl0_inv
	ds_load_2addr_b32 v[7:8], v35 offset1:1
	ds_load_2addr_b32 v[5:6], v35 offset0:2 offset1:3
	ds_load_2addr_b32 v[3:4], v35 offset0:4 offset1:5
	;; [unrolled: 1-line block ×5, first 2 shown]
	s_waitcnt lgkmcnt(5)
	v_mul_f32_e32 v9, v7, v8
	s_waitcnt lgkmcnt(4)
	s_delay_alu instid0(VALU_DEP_1) | instskip(NEXT) | instid1(VALU_DEP_1)
	v_mul_f32_e32 v9, v9, v5
	v_mul_f32_e32 v9, v9, v6
	s_waitcnt lgkmcnt(3)
	s_delay_alu instid0(VALU_DEP_1) | instskip(NEXT) | instid1(VALU_DEP_1)
	v_mul_f32_e32 v9, v9, v3
	;; [unrolled: 4-line block ×3, first 2 shown]
	v_mul_f32_e32 v36, v9, v2
	ds_load_2addr_b32 v[15:16], v35 offset0:12 offset1:13
	ds_load_2addr_b32 v[9:10], v35 offset0:14 offset1:15
	s_waitcnt lgkmcnt(0)
	s_barrier
	buffer_gl0_inv
	v_mul_f32_e32 v36, v36, v11
	s_delay_alu instid0(VALU_DEP_1) | instskip(NEXT) | instid1(VALU_DEP_1)
	v_mul_f32_e32 v36, v36, v12
	v_mul_f32_e32 v36, v36, v13
	s_delay_alu instid0(VALU_DEP_1) | instskip(NEXT) | instid1(VALU_DEP_1)
	v_mul_f32_e32 v36, v36, v14
	;; [unrolled: 3-line block ×3, first 2 shown]
	v_mul_f32_e32 v36, v36, v9
	s_delay_alu instid0(VALU_DEP_1) | instskip(SKIP_1) | instid1(VALU_DEP_2)
	v_mul_f32_e32 v37, v36, v10
	v_mbcnt_lo_u32_b32 v36, -1, 0
	v_mov_b32_dpp v38, v37 row_shr:1 row_mask:0xf bank_mask:0xf
	s_delay_alu instid0(VALU_DEP_1) | instskip(NEXT) | instid1(VALU_DEP_1)
	v_dual_mul_f32 v38, v37, v38 :: v_dual_and_b32 v39, 15, v36
	v_cmp_eq_u32_e64 s17, 0, v39
	s_delay_alu instid0(VALU_DEP_1) | instskip(SKIP_1) | instid1(VALU_DEP_2)
	v_cndmask_b32_e64 v37, v38, v37, s17
	v_cmp_lt_u32_e64 s17, 1, v39
	v_mov_b32_dpp v38, v37 row_shr:2 row_mask:0xf bank_mask:0xf
	s_delay_alu instid0(VALU_DEP_1) | instskip(NEXT) | instid1(VALU_DEP_1)
	v_mul_f32_e32 v38, v37, v38
	v_cndmask_b32_e64 v37, v37, v38, s17
	v_cmp_lt_u32_e64 s17, 3, v39
	s_delay_alu instid0(VALU_DEP_2) | instskip(NEXT) | instid1(VALU_DEP_1)
	v_mov_b32_dpp v38, v37 row_shr:4 row_mask:0xf bank_mask:0xf
	v_mul_f32_e32 v38, v37, v38
	s_delay_alu instid0(VALU_DEP_1) | instskip(SKIP_2) | instid1(VALU_DEP_3)
	v_cndmask_b32_e64 v37, v37, v38, s17
	v_cmp_lt_u32_e64 s17, 7, v39
	v_and_b32_e32 v39, 16, v36
	v_mov_b32_dpp v38, v37 row_shr:8 row_mask:0xf bank_mask:0xf
	s_delay_alu instid0(VALU_DEP_1) | instskip(NEXT) | instid1(VALU_DEP_1)
	v_mul_f32_e32 v38, v37, v38
	v_cndmask_b32_e64 v37, v37, v38, s17
	s_delay_alu instid0(VALU_DEP_4) | instskip(SKIP_3) | instid1(VALU_DEP_1)
	v_cmp_eq_u32_e64 s17, 0, v39
	ds_swizzle_b32 v38, v37 offset:swizzle(BROADCAST,32,15)
	s_waitcnt lgkmcnt(0)
	v_mul_f32_e32 v38, v37, v38
	v_cndmask_b32_e64 v37, v38, v37, s17
	v_cmpx_eq_u32_e64 v40, v0
	s_cbranch_execz .LBB59_34
; %bb.33:
	ds_store_b32 v29, v37
.LBB59_34:
	s_or_b32 exec_lo, exec_lo, s18
	s_delay_alu instid0(SALU_CYCLE_1)
	s_mov_b32 s18, exec_lo
	s_waitcnt lgkmcnt(0)
	s_barrier
	buffer_gl0_inv
	v_cmpx_gt_u32_e32 2, v0
	s_cbranch_execz .LBB59_36
; %bb.35:
	ds_load_b32 v38, v19
	s_waitcnt lgkmcnt(0)
	v_mov_b32_dpp v39, v38 row_shr:1 row_mask:0xf bank_mask:0xf
	s_delay_alu instid0(VALU_DEP_1) | instskip(NEXT) | instid1(VALU_DEP_1)
	v_dual_mul_f32 v39, v38, v39 :: v_dual_and_b32 v40, 1, v36
	v_cmp_eq_u32_e64 s17, 0, v40
	s_delay_alu instid0(VALU_DEP_1)
	v_cndmask_b32_e64 v38, v39, v38, s17
	ds_store_b32 v19, v38
.LBB59_36:
	s_or_b32 exec_lo, exec_lo, s18
	s_delay_alu instid0(SALU_CYCLE_1)
	s_mov_b32 s18, exec_lo
	s_waitcnt lgkmcnt(0)
	s_barrier
	buffer_gl0_inv
                                        ; implicit-def: $vgpr38
	v_cmpx_lt_u32_e32 31, v0
	s_cbranch_execz .LBB59_38
; %bb.37:
	v_add_nc_u32_e32 v29, -4, v29
	ds_load_b32 v38, v29
	s_waitcnt lgkmcnt(0)
	v_mul_f32_e32 v37, v37, v38
.LBB59_38:
	s_or_b32 exec_lo, exec_lo, s18
	v_add_nc_u32_e32 v29, -1, v36
	s_barrier
	buffer_gl0_inv
	s_load_b64 s[0:1], s[0:1], 0x18
	v_cmp_gt_i32_e64 s17, 0, v29
	s_delay_alu instid0(VALU_DEP_1) | instskip(SKIP_1) | instid1(VALU_DEP_2)
	v_cndmask_b32_e64 v29, v29, v36, s17
	v_cmp_eq_u32_e64 s17, 0, v36
	v_lshlrev_b32_e32 v29, 2, v29
	ds_bpermute_b32 v29, v29, v37
	s_waitcnt lgkmcnt(0)
	v_cndmask_b32_e64 v29, v29, v38, s17
	v_cmp_eq_u32_e64 s17, 0, v0
	s_delay_alu instid0(VALU_DEP_2) | instskip(NEXT) | instid1(VALU_DEP_1)
	v_mul_f32_e32 v29, v7, v29
	v_cndmask_b32_e64 v0, v29, v7, s17
	s_delay_alu instid0(VALU_DEP_1) | instskip(NEXT) | instid1(VALU_DEP_1)
	v_mul_f32_e32 v7, v8, v0
	v_mul_f32_e32 v5, v5, v7
	s_delay_alu instid0(VALU_DEP_1) | instskip(NEXT) | instid1(VALU_DEP_1)
	v_mul_f32_e32 v6, v6, v5
	v_mul_f32_e32 v3, v3, v6
	;; [unrolled: 3-line block ×7, first 2 shown]
	s_delay_alu instid0(VALU_DEP_1)
	v_mul_f32_e32 v10, v10, v9
	ds_store_2addr_b32 v35, v0, v7 offset1:1
	ds_store_2addr_b32 v35, v5, v6 offset0:2 offset1:3
	ds_store_2addr_b32 v35, v3, v4 offset0:4 offset1:5
	;; [unrolled: 1-line block ×7, first 2 shown]
	s_waitcnt lgkmcnt(0)
	s_barrier
	buffer_gl0_inv
	ds_load_b32 v16, v18 offset:256
	ds_load_b32 v15, v21 offset:512
	;; [unrolled: 1-line block ×15, first 2 shown]
	v_add_co_u32 v0, s0, s0, v19
	s_delay_alu instid0(VALU_DEP_1)
	v_add_co_ci_u32_e64 v1, null, s1, 0, s0
	s_and_saveexec_b32 s0, vcc_lo
	s_cbranch_execnz .LBB59_55
; %bb.39:
	s_or_b32 exec_lo, exec_lo, s0
	s_and_saveexec_b32 s0, s2
	s_cbranch_execnz .LBB59_56
.LBB59_40:
	s_or_b32 exec_lo, exec_lo, s0
	s_and_saveexec_b32 s0, s3
	s_cbranch_execnz .LBB59_57
.LBB59_41:
	s_or_b32 exec_lo, exec_lo, s0
	s_and_saveexec_b32 s0, s4
	s_cbranch_execnz .LBB59_58
.LBB59_42:
	s_or_b32 exec_lo, exec_lo, s0
	s_and_saveexec_b32 s0, s5
	s_cbranch_execnz .LBB59_59
.LBB59_43:
	s_or_b32 exec_lo, exec_lo, s0
	s_and_saveexec_b32 s0, s6
	s_cbranch_execnz .LBB59_60
.LBB59_44:
	s_or_b32 exec_lo, exec_lo, s0
	s_and_saveexec_b32 s0, s7
	s_cbranch_execnz .LBB59_61
.LBB59_45:
	s_or_b32 exec_lo, exec_lo, s0
	s_and_saveexec_b32 s0, s8
	s_cbranch_execnz .LBB59_62
.LBB59_46:
	s_or_b32 exec_lo, exec_lo, s0
	s_and_saveexec_b32 s0, s9
	s_cbranch_execnz .LBB59_63
.LBB59_47:
	s_or_b32 exec_lo, exec_lo, s0
	s_and_saveexec_b32 s0, s10
	s_cbranch_execnz .LBB59_64
.LBB59_48:
	s_or_b32 exec_lo, exec_lo, s0
	s_and_saveexec_b32 s0, s11
	s_cbranch_execnz .LBB59_65
.LBB59_49:
	s_or_b32 exec_lo, exec_lo, s0
	s_and_saveexec_b32 s0, s12
	s_cbranch_execnz .LBB59_66
.LBB59_50:
	s_or_b32 exec_lo, exec_lo, s0
	s_and_saveexec_b32 s0, s13
	s_cbranch_execnz .LBB59_67
.LBB59_51:
	s_or_b32 exec_lo, exec_lo, s0
	s_and_saveexec_b32 s0, s14
	s_cbranch_execnz .LBB59_68
.LBB59_52:
	s_or_b32 exec_lo, exec_lo, s0
	s_and_saveexec_b32 s0, s15
	s_cbranch_execnz .LBB59_69
.LBB59_53:
	s_or_b32 exec_lo, exec_lo, s0
	s_and_saveexec_b32 s0, s16
	s_cbranch_execnz .LBB59_70
.LBB59_54:
	s_nop 0
	s_sendmsg sendmsg(MSG_DEALLOC_VGPRS)
	s_endpgm
.LBB59_55:
	ds_load_b32 v17, v17
	s_waitcnt lgkmcnt(0)
	global_store_b32 v[0:1], v17, off
	s_or_b32 exec_lo, exec_lo, s0
	s_and_saveexec_b32 s0, s2
	s_cbranch_execz .LBB59_40
.LBB59_56:
	s_waitcnt lgkmcnt(14)
	global_store_b32 v[0:1], v16, off offset:256
	s_or_b32 exec_lo, exec_lo, s0
	s_and_saveexec_b32 s0, s3
	s_cbranch_execz .LBB59_41
.LBB59_57:
	s_waitcnt lgkmcnt(13)
	global_store_b32 v[0:1], v15, off offset:512
	s_or_b32 exec_lo, exec_lo, s0
	s_and_saveexec_b32 s0, s4
	s_cbranch_execz .LBB59_42
.LBB59_58:
	s_waitcnt lgkmcnt(12)
	global_store_b32 v[0:1], v14, off offset:768
	s_or_b32 exec_lo, exec_lo, s0
	s_and_saveexec_b32 s0, s5
	s_cbranch_execz .LBB59_43
.LBB59_59:
	s_waitcnt lgkmcnt(11)
	global_store_b32 v[0:1], v13, off offset:1024
	s_or_b32 exec_lo, exec_lo, s0
	s_and_saveexec_b32 s0, s6
	s_cbranch_execz .LBB59_44
.LBB59_60:
	s_waitcnt lgkmcnt(10)
	global_store_b32 v[0:1], v12, off offset:1280
	s_or_b32 exec_lo, exec_lo, s0
	s_and_saveexec_b32 s0, s7
	s_cbranch_execz .LBB59_45
.LBB59_61:
	s_waitcnt lgkmcnt(9)
	global_store_b32 v[0:1], v11, off offset:1536
	s_or_b32 exec_lo, exec_lo, s0
	s_and_saveexec_b32 s0, s8
	s_cbranch_execz .LBB59_46
.LBB59_62:
	s_waitcnt lgkmcnt(8)
	global_store_b32 v[0:1], v10, off offset:1792
	s_or_b32 exec_lo, exec_lo, s0
	s_and_saveexec_b32 s0, s9
	s_cbranch_execz .LBB59_47
.LBB59_63:
	s_waitcnt lgkmcnt(7)
	global_store_b32 v[0:1], v9, off offset:2048
	s_or_b32 exec_lo, exec_lo, s0
	s_and_saveexec_b32 s0, s10
	s_cbranch_execz .LBB59_48
.LBB59_64:
	s_waitcnt lgkmcnt(6)
	global_store_b32 v[0:1], v8, off offset:2304
	s_or_b32 exec_lo, exec_lo, s0
	s_and_saveexec_b32 s0, s11
	s_cbranch_execz .LBB59_49
.LBB59_65:
	s_waitcnt lgkmcnt(5)
	global_store_b32 v[0:1], v7, off offset:2560
	s_or_b32 exec_lo, exec_lo, s0
	s_and_saveexec_b32 s0, s12
	s_cbranch_execz .LBB59_50
.LBB59_66:
	s_waitcnt lgkmcnt(4)
	global_store_b32 v[0:1], v6, off offset:2816
	s_or_b32 exec_lo, exec_lo, s0
	s_and_saveexec_b32 s0, s13
	s_cbranch_execz .LBB59_51
.LBB59_67:
	s_waitcnt lgkmcnt(3)
	global_store_b32 v[0:1], v5, off offset:3072
	s_or_b32 exec_lo, exec_lo, s0
	s_and_saveexec_b32 s0, s14
	s_cbranch_execz .LBB59_52
.LBB59_68:
	s_waitcnt lgkmcnt(2)
	global_store_b32 v[0:1], v4, off offset:3328
	s_or_b32 exec_lo, exec_lo, s0
	s_and_saveexec_b32 s0, s15
	s_cbranch_execz .LBB59_53
.LBB59_69:
	s_waitcnt lgkmcnt(1)
	global_store_b32 v[0:1], v3, off offset:3584
	s_or_b32 exec_lo, exec_lo, s0
	s_and_saveexec_b32 s0, s16
	s_cbranch_execz .LBB59_54
.LBB59_70:
	s_waitcnt lgkmcnt(0)
	global_store_b32 v[0:1], v2, off offset:3840
	s_nop 0
	s_sendmsg sendmsg(MSG_DEALLOC_VGPRS)
	s_endpgm
	.section	.rodata,"a",@progbits
	.p2align	6, 0x0
	.amdhsa_kernel _ZN7rocprim17ROCPRIM_304000_NS6detail18single_scan_kernelILb0ENS1_19wrapped_scan_configINS0_14default_configEfEEPKfPfSt10multipliesIfEffEEvT1_mT4_T2_T3_
		.amdhsa_group_segment_fixed_size 4224
		.amdhsa_private_segment_fixed_size 0
		.amdhsa_kernarg_size 36
		.amdhsa_user_sgpr_count 15
		.amdhsa_user_sgpr_dispatch_ptr 0
		.amdhsa_user_sgpr_queue_ptr 0
		.amdhsa_user_sgpr_kernarg_segment_ptr 1
		.amdhsa_user_sgpr_dispatch_id 0
		.amdhsa_user_sgpr_private_segment_size 0
		.amdhsa_wavefront_size32 1
		.amdhsa_uses_dynamic_stack 0
		.amdhsa_enable_private_segment 0
		.amdhsa_system_sgpr_workgroup_id_x 1
		.amdhsa_system_sgpr_workgroup_id_y 0
		.amdhsa_system_sgpr_workgroup_id_z 0
		.amdhsa_system_sgpr_workgroup_info 0
		.amdhsa_system_vgpr_workitem_id 0
		.amdhsa_next_free_vgpr 41
		.amdhsa_next_free_sgpr 24
		.amdhsa_reserve_vcc 1
		.amdhsa_float_round_mode_32 0
		.amdhsa_float_round_mode_16_64 0
		.amdhsa_float_denorm_mode_32 3
		.amdhsa_float_denorm_mode_16_64 3
		.amdhsa_dx10_clamp 1
		.amdhsa_ieee_mode 1
		.amdhsa_fp16_overflow 0
		.amdhsa_workgroup_processor_mode 1
		.amdhsa_memory_ordered 1
		.amdhsa_forward_progress 0
		.amdhsa_shared_vgpr_count 0
		.amdhsa_exception_fp_ieee_invalid_op 0
		.amdhsa_exception_fp_denorm_src 0
		.amdhsa_exception_fp_ieee_div_zero 0
		.amdhsa_exception_fp_ieee_overflow 0
		.amdhsa_exception_fp_ieee_underflow 0
		.amdhsa_exception_fp_ieee_inexact 0
		.amdhsa_exception_int_div_zero 0
	.end_amdhsa_kernel
	.section	.text._ZN7rocprim17ROCPRIM_304000_NS6detail18single_scan_kernelILb0ENS1_19wrapped_scan_configINS0_14default_configEfEEPKfPfSt10multipliesIfEffEEvT1_mT4_T2_T3_,"axG",@progbits,_ZN7rocprim17ROCPRIM_304000_NS6detail18single_scan_kernelILb0ENS1_19wrapped_scan_configINS0_14default_configEfEEPKfPfSt10multipliesIfEffEEvT1_mT4_T2_T3_,comdat
.Lfunc_end59:
	.size	_ZN7rocprim17ROCPRIM_304000_NS6detail18single_scan_kernelILb0ENS1_19wrapped_scan_configINS0_14default_configEfEEPKfPfSt10multipliesIfEffEEvT1_mT4_T2_T3_, .Lfunc_end59-_ZN7rocprim17ROCPRIM_304000_NS6detail18single_scan_kernelILb0ENS1_19wrapped_scan_configINS0_14default_configEfEEPKfPfSt10multipliesIfEffEEvT1_mT4_T2_T3_
                                        ; -- End function
	.section	.AMDGPU.csdata,"",@progbits
; Kernel info:
; codeLenInByte = 2808
; NumSgprs: 26
; NumVgprs: 41
; ScratchSize: 0
; MemoryBound: 0
; FloatMode: 240
; IeeeMode: 1
; LDSByteSize: 4224 bytes/workgroup (compile time only)
; SGPRBlocks: 3
; VGPRBlocks: 5
; NumSGPRsForWavesPerEU: 26
; NumVGPRsForWavesPerEU: 41
; Occupancy: 16
; WaveLimiterHint : 0
; COMPUTE_PGM_RSRC2:SCRATCH_EN: 0
; COMPUTE_PGM_RSRC2:USER_SGPR: 15
; COMPUTE_PGM_RSRC2:TRAP_HANDLER: 0
; COMPUTE_PGM_RSRC2:TGID_X_EN: 1
; COMPUTE_PGM_RSRC2:TGID_Y_EN: 0
; COMPUTE_PGM_RSRC2:TGID_Z_EN: 0
; COMPUTE_PGM_RSRC2:TIDIG_COMP_CNT: 0
	.section	.text._ZN2at6native32tensor_kernel_scan_innermost_dimIfSt10multipliesIfEEEvPT_PKS4_jjjS4_T0_,"axG",@progbits,_ZN2at6native32tensor_kernel_scan_innermost_dimIfSt10multipliesIfEEEvPT_PKS4_jjjS4_T0_,comdat
	.protected	_ZN2at6native32tensor_kernel_scan_innermost_dimIfSt10multipliesIfEEEvPT_PKS4_jjjS4_T0_ ; -- Begin function _ZN2at6native32tensor_kernel_scan_innermost_dimIfSt10multipliesIfEEEvPT_PKS4_jjjS4_T0_
	.globl	_ZN2at6native32tensor_kernel_scan_innermost_dimIfSt10multipliesIfEEEvPT_PKS4_jjjS4_T0_
	.p2align	8
	.type	_ZN2at6native32tensor_kernel_scan_innermost_dimIfSt10multipliesIfEEEvPT_PKS4_jjjS4_T0_,@function
_ZN2at6native32tensor_kernel_scan_innermost_dimIfSt10multipliesIfEEEvPT_PKS4_jjjS4_T0_: ; @_ZN2at6native32tensor_kernel_scan_innermost_dimIfSt10multipliesIfEEEvPT_PKS4_jjjS4_T0_
; %bb.0:
	s_load_b256 s[16:23], s[0:1], 0x0
	v_bfe_u32 v9, v0, 10, 10
	s_waitcnt lgkmcnt(0)
	s_lshl_b32 s5, 2, s22
	s_mul_hi_u32 s2, s20, s21
	s_delay_alu instid0(VALU_DEP_1) | instskip(SKIP_3) | instid1(VALU_DEP_1)
	v_mul_lo_u32 v1, s5, v9
	s_mov_b32 s6, s20
	s_cmp_lg_u32 s2, 0
	s_mov_b32 s2, -1
	v_lshl_add_u32 v10, v1, 2, 0
	s_cbranch_scc1 .LBB60_26
; %bb.1:
	s_load_b32 s4, s[0:1], 0x34
	s_add_u32 s2, s0, 40
	s_addc_u32 s3, s1, 0
	s_waitcnt lgkmcnt(0)
	s_lshr_b32 s4, s4, 16
	s_delay_alu instid0(SALU_CYCLE_1) | instskip(NEXT) | instid1(SALU_CYCLE_1)
	s_mul_i32 s7, s15, s4
	s_cmp_ge_u32 s7, s20
	s_cbranch_scc1 .LBB60_25
; %bb.2:
	s_load_b32 s10, s[2:3], 0x0
	v_dual_mov_b32 v2, 0 :: v_dual_and_b32 v5, 0x3ff, v0
	v_add_nc_u32_e32 v6, -4, v10
	s_lshl_b32 s8, 1, s22
	s_cmp_lg_u32 s21, 0
	s_delay_alu instid0(VALU_DEP_2)
	v_lshl_add_u32 v7, v5, 2, v10
	v_cmp_eq_u32_e64 s2, 0, v5
	v_lshl_add_u32 v8, s5, 2, v6
	s_cselect_b32 s9, -1, 0
	s_add_i32 s11, s22, 1
	v_lshl_add_u32 v11, s8, 2, v7
	s_waitcnt lgkmcnt(0)
	s_mul_i32 s10, s10, s4
	s_branch .LBB60_4
.LBB60_3:                               ;   in Loop: Header=BB60_4 Depth=1
	s_add_i32 s7, s7, s10
	s_delay_alu instid0(SALU_CYCLE_1)
	s_cmp_ge_u32 s7, s20
	s_cbranch_scc1 .LBB60_25
.LBB60_4:                               ; =>This Loop Header: Depth=1
                                        ;     Child Loop BB60_7 Depth 2
                                        ;       Child Loop BB60_16 Depth 3
	s_and_not1_b32 vcc_lo, exec_lo, s9
	s_cbranch_vccnz .LBB60_3
; %bb.5:                                ;   in Loop: Header=BB60_4 Depth=1
	v_add_nc_u32_e32 v12, s7, v9
	v_mov_b32_e32 v16, s23
	s_mov_b32 s12, 0
	s_delay_alu instid0(VALU_DEP_2) | instskip(SKIP_2) | instid1(VALU_DEP_3)
	v_mul_lo_u32 v1, v12, s21
	v_cmp_gt_u32_e32 vcc_lo, s20, v12
	v_cmp_le_u32_e64 s3, s20, v12
	v_lshlrev_b64 v[3:4], 2, v[1:2]
	s_delay_alu instid0(VALU_DEP_1) | instskip(NEXT) | instid1(VALU_DEP_1)
	v_add_co_u32 v12, s4, s18, v3
	v_add_co_ci_u32_e64 v13, s4, s19, v4, s4
	v_add_co_u32 v14, s4, s16, v3
	s_delay_alu instid0(VALU_DEP_1)
	v_add_co_ci_u32_e64 v15, s4, s17, v4, s4
	s_branch .LBB60_7
.LBB60_6:                               ;   in Loop: Header=BB60_7 Depth=2
	s_or_b32 exec_lo, exec_lo, s13
	ds_load_b32 v16, v8
	s_add_i32 s12, s12, s5
	s_waitcnt lgkmcnt(0)
	s_waitcnt_vscnt null, 0x0
	s_cmp_ge_u32 s12, s21
	s_barrier
	buffer_gl0_inv
	s_cbranch_scc1 .LBB60_3
.LBB60_7:                               ;   Parent Loop BB60_4 Depth=1
                                        ; =>  This Loop Header: Depth=2
                                        ;       Child Loop BB60_16 Depth 3
	v_add_nc_u32_e32 v1, s12, v5
	s_delay_alu instid0(VALU_DEP_1)
	v_add_nc_u32_e32 v3, s8, v1
	s_and_saveexec_b32 s13, vcc_lo
	s_cbranch_execz .LBB60_14
; %bb.8:                                ;   in Loop: Header=BB60_7 Depth=2
	v_mov_b32_e32 v4, s23
	s_mov_b32 s14, exec_lo
	v_cmpx_gt_u32_e64 s21, v1
	s_cbranch_execz .LBB60_10
; %bb.9:                                ;   in Loop: Header=BB60_7 Depth=2
	v_lshlrev_b64 v[17:18], 2, v[1:2]
	s_delay_alu instid0(VALU_DEP_1) | instskip(NEXT) | instid1(VALU_DEP_1)
	v_add_co_u32 v17, s4, v12, v17
	v_add_co_ci_u32_e64 v18, s4, v13, v18, s4
	global_load_b32 v4, v[17:18], off
.LBB60_10:                              ;   in Loop: Header=BB60_7 Depth=2
	s_or_b32 exec_lo, exec_lo, s14
	v_mov_b32_e32 v17, s23
	s_mov_b32 s14, exec_lo
	s_waitcnt vmcnt(0)
	ds_store_b32 v7, v4
	v_cmpx_gt_u32_e64 s21, v3
	s_cbranch_execz .LBB60_12
; %bb.11:                               ;   in Loop: Header=BB60_7 Depth=2
	v_mov_b32_e32 v4, v2
	s_delay_alu instid0(VALU_DEP_1) | instskip(NEXT) | instid1(VALU_DEP_1)
	v_lshlrev_b64 v[17:18], 2, v[3:4]
	v_add_co_u32 v17, s4, v12, v17
	s_delay_alu instid0(VALU_DEP_1)
	v_add_co_ci_u32_e64 v18, s4, v13, v18, s4
	global_load_b32 v17, v[17:18], off
.LBB60_12:                              ;   in Loop: Header=BB60_7 Depth=2
	s_or_b32 exec_lo, exec_lo, s14
	s_waitcnt vmcnt(0)
	ds_store_b32 v11, v17
	s_and_b32 exec_lo, exec_lo, s2
	s_cbranch_execz .LBB60_14
; %bb.13:                               ;   in Loop: Header=BB60_7 Depth=2
	ds_load_b32 v4, v10
	s_waitcnt lgkmcnt(0)
	v_mul_f32_e32 v4, v16, v4
	ds_store_b32 v10, v4
.LBB60_14:                              ;   in Loop: Header=BB60_7 Depth=2
	s_or_b32 exec_lo, exec_lo, s13
	v_mov_b32_e32 v4, 0
	s_mov_b32 s13, 0
	s_waitcnt lgkmcnt(0)
	s_barrier
	buffer_gl0_inv
	s_set_inst_prefetch_distance 0x1
	s_branch .LBB60_16
	.p2align	6
.LBB60_15:                              ;   in Loop: Header=BB60_16 Depth=3
	s_or_b32 exec_lo, exec_lo, s4
	s_delay_alu instid0(VALU_DEP_1) | instskip(SKIP_4) | instid1(SALU_CYCLE_1)
	v_cmp_eq_u32_e64 s4, s11, v4
	s_waitcnt lgkmcnt(0)
	s_barrier
	buffer_gl0_inv
	s_or_b32 s13, s4, s13
	s_and_not1_b32 exec_lo, exec_lo, s13
	s_cbranch_execz .LBB60_20
.LBB60_16:                              ;   Parent Loop BB60_4 Depth=1
                                        ;     Parent Loop BB60_7 Depth=2
                                        ; =>    This Inner Loop Header: Depth=3
	v_add_nc_u32_e32 v16, 1, v4
	s_and_saveexec_b32 s4, s3
	s_delay_alu instid0(SALU_CYCLE_1)
	s_xor_b32 s4, exec_lo, s4
; %bb.17:                               ;   in Loop: Header=BB60_16 Depth=3
	v_add_nc_u32_e32 v4, 1, v4
                                        ; implicit-def: $vgpr16
; %bb.18:                               ;   in Loop: Header=BB60_16 Depth=3
	s_and_not1_saveexec_b32 s4, s4
	s_cbranch_execz .LBB60_15
; %bb.19:                               ;   in Loop: Header=BB60_16 Depth=3
	s_delay_alu instid0(VALU_DEP_1) | instskip(SKIP_2) | instid1(VALU_DEP_2)
	v_lshlrev_b32_e64 v17, v4, 1
	v_lshrrev_b32_e32 v18, v4, v5
	v_bfm_b32 v4, v4, 0
	v_lshl_or_b32 v17, v18, v16, v17
	s_delay_alu instid0(VALU_DEP_2) | instskip(NEXT) | instid1(VALU_DEP_2)
	v_and_b32_e32 v4, v4, v5
	v_lshlrev_b32_e32 v17, 2, v17
	s_delay_alu instid0(VALU_DEP_2) | instskip(NEXT) | instid1(VALU_DEP_1)
	v_lshlrev_b32_e32 v4, 2, v4
	v_add3_u32 v18, v10, v17, v4
	v_add_nc_u32_e32 v4, v6, v17
	ds_load_b32 v17, v18
	ds_load_b32 v4, v4
	s_waitcnt lgkmcnt(0)
	v_dual_mul_f32 v17, v17, v4 :: v_dual_mov_b32 v4, v16
	ds_store_b32 v18, v17
	s_branch .LBB60_15
.LBB60_20:                              ;   in Loop: Header=BB60_7 Depth=2
	s_set_inst_prefetch_distance 0x2
	s_or_b32 exec_lo, exec_lo, s13
	s_and_saveexec_b32 s13, vcc_lo
	s_cbranch_execz .LBB60_6
; %bb.21:                               ;   in Loop: Header=BB60_7 Depth=2
	s_mov_b32 s14, exec_lo
	v_cmpx_gt_u32_e64 s21, v1
	s_cbranch_execz .LBB60_23
; %bb.22:                               ;   in Loop: Header=BB60_7 Depth=2
	ds_load_b32 v4, v7
	v_lshlrev_b64 v[16:17], 2, v[1:2]
	s_delay_alu instid0(VALU_DEP_1) | instskip(NEXT) | instid1(VALU_DEP_1)
	v_add_co_u32 v16, s4, v14, v16
	v_add_co_ci_u32_e64 v17, s4, v15, v17, s4
	s_waitcnt lgkmcnt(0)
	global_store_b32 v[16:17], v4, off
.LBB60_23:                              ;   in Loop: Header=BB60_7 Depth=2
	s_or_b32 exec_lo, exec_lo, s14
	v_cmp_gt_u32_e64 s4, s21, v3
	s_delay_alu instid0(VALU_DEP_1)
	s_and_b32 exec_lo, exec_lo, s4
	s_cbranch_execz .LBB60_6
; %bb.24:                               ;   in Loop: Header=BB60_7 Depth=2
	ds_load_b32 v1, v11
	v_mov_b32_e32 v4, v2
	s_delay_alu instid0(VALU_DEP_1) | instskip(NEXT) | instid1(VALU_DEP_1)
	v_lshlrev_b64 v[3:4], 2, v[3:4]
	v_add_co_u32 v3, s4, v14, v3
	s_delay_alu instid0(VALU_DEP_1)
	v_add_co_ci_u32_e64 v4, s4, v15, v4, s4
	s_waitcnt lgkmcnt(0)
	global_store_b32 v[3:4], v1, off
	s_branch .LBB60_6
.LBB60_25:
	s_mov_b32 s2, 0
.LBB60_26:
	s_delay_alu instid0(SALU_CYCLE_1)
	s_and_not1_b32 vcc_lo, exec_lo, s2
	s_cbranch_vccnz .LBB60_53
; %bb.27:
	s_load_b32 s2, s[0:1], 0x34
	s_add_u32 s0, s0, 40
	s_addc_u32 s1, s1, 0
	s_mov_b32 s7, 0
	s_waitcnt lgkmcnt(0)
	s_lshr_b32 s2, s2, 16
	s_delay_alu instid0(SALU_CYCLE_1) | instskip(SKIP_1) | instid1(SALU_CYCLE_1)
	s_mul_hi_u32 s5, s2, s15
	s_mul_i32 s4, s2, s15
	v_cmp_ge_u64_e64 s3, s[4:5], s[6:7]
	s_delay_alu instid0(VALU_DEP_1)
	s_and_b32 vcc_lo, exec_lo, s3
	s_cbranch_vccnz .LBB60_53
; %bb.28:
	s_load_b32 s1, s[0:1], 0x0
	v_dual_mov_b32 v1, 0 :: v_dual_and_b32 v0, 0x3ff, v0
	s_lshl_b32 s8, 1, s22
	s_and_b32 s2, 0xffff, s2
	s_ashr_i32 s9, s8, 31
	s_cmp_lg_u32 s21, 0
	v_lshl_add_u32 v11, v0, 2, v10
	s_cselect_b32 s3, -1, 0
	s_lshl_b64 s[12:13], s[8:9], 1
	v_cmp_eq_u32_e64 s0, 0, v0
	s_lshl_b32 s11, s12, 2
	v_lshl_add_u32 v13, s8, 2, v11
	v_add3_u32 v12, v10, s11, -4
	s_mov_b32 s10, s21
	s_mov_b32 s11, s7
	s_add_i32 s21, s22, 1
	s_waitcnt lgkmcnt(0)
	s_mul_i32 s20, s1, s2
	s_branch .LBB60_30
.LBB60_29:                              ;   in Loop: Header=BB60_30 Depth=1
	s_add_u32 s4, s4, s20
	s_addc_u32 s5, s5, 0
	s_delay_alu instid0(SALU_CYCLE_1) | instskip(NEXT) | instid1(VALU_DEP_1)
	v_cmp_ge_u64_e64 s1, s[4:5], s[6:7]
	s_and_b32 vcc_lo, exec_lo, s1
	s_cbranch_vccnz .LBB60_53
.LBB60_30:                              ; =>This Loop Header: Depth=1
                                        ;     Child Loop BB60_33 Depth 2
                                        ;       Child Loop BB60_43 Depth 3
	s_and_not1_b32 vcc_lo, exec_lo, s3
	s_cbranch_vccnz .LBB60_29
; %bb.31:                               ;   in Loop: Header=BB60_30 Depth=1
	v_add_co_u32 v2, s1, s4, v9
	s_delay_alu instid0(VALU_DEP_1) | instskip(SKIP_1) | instid1(VALU_DEP_2)
	v_add_co_ci_u32_e64 v3, null, s5, 0, s1
	s_mov_b64 s[14:15], 0
	v_mad_u64_u32 v[4:5], null, v2, s10, 0
	s_delay_alu instid0(VALU_DEP_2) | instskip(SKIP_1) | instid1(VALU_DEP_3)
	v_cmp_gt_u64_e64 s1, s[6:7], v[2:3]
	v_cmp_le_u64_e64 s2, s[6:7], v[2:3]
	v_mad_u64_u32 v[6:7], null, v3, s10, v[5:6]
	s_delay_alu instid0(VALU_DEP_1) | instskip(NEXT) | instid1(VALU_DEP_1)
	v_dual_mov_b32 v5, v6 :: v_dual_mov_b32 v6, s23
	v_lshlrev_b64 v[4:5], 2, v[4:5]
	s_delay_alu instid0(VALU_DEP_1) | instskip(NEXT) | instid1(VALU_DEP_2)
	v_add_co_u32 v14, vcc_lo, s18, v4
	v_add_co_ci_u32_e32 v15, vcc_lo, s19, v5, vcc_lo
	v_add_co_u32 v16, vcc_lo, s16, v4
	v_add_co_ci_u32_e32 v17, vcc_lo, s17, v5, vcc_lo
	s_branch .LBB60_33
.LBB60_32:                              ;   in Loop: Header=BB60_33 Depth=2
	s_or_b32 exec_lo, exec_lo, s22
	ds_load_b32 v6, v12
	s_add_u32 s14, s14, s12
	s_addc_u32 s15, s15, s13
	s_waitcnt lgkmcnt(0)
	s_waitcnt_vscnt null, 0x0
	v_cmp_ge_u64_e64 s22, s[14:15], s[10:11]
	s_barrier
	buffer_gl0_inv
	s_and_b32 vcc_lo, exec_lo, s22
	s_cbranch_vccnz .LBB60_29
.LBB60_33:                              ;   Parent Loop BB60_30 Depth=1
                                        ; =>  This Loop Header: Depth=2
                                        ;       Child Loop BB60_43 Depth 3
	v_add_co_u32 v4, s22, s14, v0
	s_delay_alu instid0(VALU_DEP_1) | instskip(NEXT) | instid1(VALU_DEP_2)
	v_add_co_ci_u32_e64 v5, null, s15, 0, s22
	v_add_co_u32 v2, vcc_lo, v4, s8
	s_delay_alu instid0(VALU_DEP_2)
	v_add_co_ci_u32_e32 v3, vcc_lo, s9, v5, vcc_lo
	s_and_saveexec_b32 s22, s1
	s_cbranch_execz .LBB60_40
; %bb.34:                               ;   in Loop: Header=BB60_33 Depth=2
	v_mov_b32_e32 v7, s23
	s_mov_b32 s24, exec_lo
	v_cmpx_gt_u64_e64 s[10:11], v[4:5]
	s_cbranch_execz .LBB60_36
; %bb.35:                               ;   in Loop: Header=BB60_33 Depth=2
	v_lshlrev_b64 v[7:8], 2, v[4:5]
	s_delay_alu instid0(VALU_DEP_1) | instskip(NEXT) | instid1(VALU_DEP_2)
	v_add_co_u32 v7, vcc_lo, v14, v7
	v_add_co_ci_u32_e32 v8, vcc_lo, v15, v8, vcc_lo
	global_load_b32 v7, v[7:8], off
.LBB60_36:                              ;   in Loop: Header=BB60_33 Depth=2
	s_or_b32 exec_lo, exec_lo, s24
	v_mov_b32_e32 v8, s23
	s_mov_b32 s24, exec_lo
	s_waitcnt vmcnt(0)
	ds_store_b32 v11, v7
	v_cmpx_gt_u64_e64 s[10:11], v[2:3]
	s_cbranch_execz .LBB60_38
; %bb.37:                               ;   in Loop: Header=BB60_33 Depth=2
	v_lshlrev_b64 v[7:8], 2, v[2:3]
	s_delay_alu instid0(VALU_DEP_1) | instskip(NEXT) | instid1(VALU_DEP_2)
	v_add_co_u32 v7, vcc_lo, v14, v7
	v_add_co_ci_u32_e32 v8, vcc_lo, v15, v8, vcc_lo
	global_load_b32 v8, v[7:8], off
.LBB60_38:                              ;   in Loop: Header=BB60_33 Depth=2
	s_or_b32 exec_lo, exec_lo, s24
	s_waitcnt vmcnt(0)
	ds_store_b32 v13, v8
	s_and_b32 exec_lo, exec_lo, s0
	s_cbranch_execz .LBB60_40
; %bb.39:                               ;   in Loop: Header=BB60_33 Depth=2
	ds_load_b32 v7, v10
	s_waitcnt lgkmcnt(0)
	v_mul_f32_e32 v6, v6, v7
	ds_store_b32 v10, v6
.LBB60_40:                              ;   in Loop: Header=BB60_33 Depth=2
	s_or_b32 exec_lo, exec_lo, s22
	v_mov_b32_e32 v19, 0
	s_mov_b32 s22, 0
	s_waitcnt lgkmcnt(0)
	s_barrier
	buffer_gl0_inv
	s_branch .LBB60_43
.LBB60_41:                              ;   in Loop: Header=BB60_43 Depth=3
	s_or_b32 exec_lo, exec_lo, s25
	v_lshrrev_b32_e32 v8, v19, v0
	s_delay_alu instid0(VALU_DEP_1) | instskip(NEXT) | instid1(VALU_DEP_1)
	v_lshl_or_b32 v6, v8, v18, v6
	v_lshl_add_u32 v6, v6, 2, v10
	s_delay_alu instid0(VALU_DEP_1)
	v_lshl_add_u32 v7, v7, 2, v6
	v_add_nc_u32_e32 v6, -4, v6
	ds_load_b32 v8, v7
	ds_load_b32 v6, v6
	s_waitcnt lgkmcnt(0)
	v_mul_f32_e32 v6, v8, v6
	ds_store_b32 v7, v6
.LBB60_42:                              ;   in Loop: Header=BB60_43 Depth=3
	s_or_b32 exec_lo, exec_lo, s24
	s_delay_alu instid0(VALU_DEP_1)
	v_cmp_eq_u32_e32 vcc_lo, s21, v18
	v_mov_b32_e32 v19, v18
	s_waitcnt lgkmcnt(0)
	s_barrier
	buffer_gl0_inv
	s_or_b32 s22, vcc_lo, s22
	s_delay_alu instid0(SALU_CYCLE_1)
	s_and_not1_b32 exec_lo, exec_lo, s22
	s_cbranch_execz .LBB60_48
.LBB60_43:                              ;   Parent Loop BB60_30 Depth=1
                                        ;     Parent Loop BB60_33 Depth=2
                                        ; =>    This Inner Loop Header: Depth=3
	v_add_nc_u32_e32 v18, 1, v19
	s_and_saveexec_b32 s24, s2
	s_delay_alu instid0(SALU_CYCLE_1)
	s_xor_b32 s24, exec_lo, s24
; %bb.44:                               ;   in Loop: Header=BB60_43 Depth=3
	v_add_nc_u32_e32 v18, 1, v19
                                        ; implicit-def: $vgpr19
; %bb.45:                               ;   in Loop: Header=BB60_43 Depth=3
	s_and_not1_saveexec_b32 s24, s24
	s_cbranch_execz .LBB60_42
; %bb.46:                               ;   in Loop: Header=BB60_43 Depth=3
	v_lshlrev_b32_e64 v6, v19, 1
	s_delay_alu instid0(VALU_DEP_1) | instskip(NEXT) | instid1(VALU_DEP_1)
	v_ashrrev_i32_e32 v7, 31, v6
	v_cmp_ge_u64_e32 vcc_lo, v[0:1], v[6:7]
	v_dual_mov_b32 v8, v1 :: v_dual_mov_b32 v7, v0
	s_and_saveexec_b32 s25, vcc_lo
	s_cbranch_execz .LBB60_41
; %bb.47:                               ;   in Loop: Header=BB60_43 Depth=3
	v_cvt_f32_u32_e32 v7, v6
	v_sub_nc_u32_e32 v8, 0, v6
	s_delay_alu instid0(VALU_DEP_2) | instskip(SKIP_2) | instid1(VALU_DEP_1)
	v_rcp_iflag_f32_e32 v7, v7
	s_waitcnt_depctr 0xfff
	v_mul_f32_e32 v7, 0x4f7ffffe, v7
	v_cvt_u32_f32_e32 v7, v7
	s_delay_alu instid0(VALU_DEP_1) | instskip(NEXT) | instid1(VALU_DEP_1)
	v_mul_lo_u32 v8, v8, v7
	v_mul_hi_u32 v8, v7, v8
	s_delay_alu instid0(VALU_DEP_1) | instskip(NEXT) | instid1(VALU_DEP_1)
	v_add_nc_u32_e32 v7, v7, v8
	v_mul_hi_u32 v7, v0, v7
	s_delay_alu instid0(VALU_DEP_1) | instskip(NEXT) | instid1(VALU_DEP_1)
	v_mul_lo_u32 v7, v7, v6
	v_sub_nc_u32_e32 v7, v0, v7
	s_delay_alu instid0(VALU_DEP_1) | instskip(SKIP_1) | instid1(VALU_DEP_2)
	v_sub_nc_u32_e32 v8, v7, v6
	v_cmp_ge_u32_e32 vcc_lo, v7, v6
	v_cndmask_b32_e32 v7, v7, v8, vcc_lo
	s_delay_alu instid0(VALU_DEP_1) | instskip(SKIP_1) | instid1(VALU_DEP_2)
	v_sub_nc_u32_e32 v8, v7, v6
	v_cmp_ge_u32_e32 vcc_lo, v7, v6
	v_cndmask_b32_e32 v7, v7, v8, vcc_lo
	s_branch .LBB60_41
.LBB60_48:                              ;   in Loop: Header=BB60_33 Depth=2
	s_or_b32 exec_lo, exec_lo, s22
	s_and_saveexec_b32 s22, s1
	s_cbranch_execz .LBB60_32
; %bb.49:                               ;   in Loop: Header=BB60_33 Depth=2
	s_mov_b32 s24, exec_lo
	v_cmpx_gt_u64_e64 s[10:11], v[4:5]
	s_cbranch_execz .LBB60_51
; %bb.50:                               ;   in Loop: Header=BB60_33 Depth=2
	ds_load_b32 v6, v11
	v_lshlrev_b64 v[4:5], 2, v[4:5]
	s_delay_alu instid0(VALU_DEP_1) | instskip(NEXT) | instid1(VALU_DEP_2)
	v_add_co_u32 v4, vcc_lo, v16, v4
	v_add_co_ci_u32_e32 v5, vcc_lo, v17, v5, vcc_lo
	s_waitcnt lgkmcnt(0)
	global_store_b32 v[4:5], v6, off
.LBB60_51:                              ;   in Loop: Header=BB60_33 Depth=2
	s_or_b32 exec_lo, exec_lo, s24
	v_cmp_gt_u64_e32 vcc_lo, s[10:11], v[2:3]
	s_and_b32 exec_lo, exec_lo, vcc_lo
	s_cbranch_execz .LBB60_32
; %bb.52:                               ;   in Loop: Header=BB60_33 Depth=2
	ds_load_b32 v4, v13
	v_lshlrev_b64 v[2:3], 2, v[2:3]
	s_delay_alu instid0(VALU_DEP_1) | instskip(NEXT) | instid1(VALU_DEP_2)
	v_add_co_u32 v2, vcc_lo, v16, v2
	v_add_co_ci_u32_e32 v3, vcc_lo, v17, v3, vcc_lo
	s_waitcnt lgkmcnt(0)
	global_store_b32 v[2:3], v4, off
	s_branch .LBB60_32
.LBB60_53:
	s_endpgm
	.section	.rodata,"a",@progbits
	.p2align	6, 0x0
	.amdhsa_kernel _ZN2at6native32tensor_kernel_scan_innermost_dimIfSt10multipliesIfEEEvPT_PKS4_jjjS4_T0_
		.amdhsa_group_segment_fixed_size 0
		.amdhsa_private_segment_fixed_size 0
		.amdhsa_kernarg_size 296
		.amdhsa_user_sgpr_count 15
		.amdhsa_user_sgpr_dispatch_ptr 0
		.amdhsa_user_sgpr_queue_ptr 0
		.amdhsa_user_sgpr_kernarg_segment_ptr 1
		.amdhsa_user_sgpr_dispatch_id 0
		.amdhsa_user_sgpr_private_segment_size 0
		.amdhsa_wavefront_size32 1
		.amdhsa_uses_dynamic_stack 0
		.amdhsa_enable_private_segment 0
		.amdhsa_system_sgpr_workgroup_id_x 1
		.amdhsa_system_sgpr_workgroup_id_y 0
		.amdhsa_system_sgpr_workgroup_id_z 0
		.amdhsa_system_sgpr_workgroup_info 0
		.amdhsa_system_vgpr_workitem_id 1
		.amdhsa_next_free_vgpr 20
		.amdhsa_next_free_sgpr 26
		.amdhsa_reserve_vcc 1
		.amdhsa_float_round_mode_32 0
		.amdhsa_float_round_mode_16_64 0
		.amdhsa_float_denorm_mode_32 3
		.amdhsa_float_denorm_mode_16_64 3
		.amdhsa_dx10_clamp 1
		.amdhsa_ieee_mode 1
		.amdhsa_fp16_overflow 0
		.amdhsa_workgroup_processor_mode 1
		.amdhsa_memory_ordered 1
		.amdhsa_forward_progress 0
		.amdhsa_shared_vgpr_count 0
		.amdhsa_exception_fp_ieee_invalid_op 0
		.amdhsa_exception_fp_denorm_src 0
		.amdhsa_exception_fp_ieee_div_zero 0
		.amdhsa_exception_fp_ieee_overflow 0
		.amdhsa_exception_fp_ieee_underflow 0
		.amdhsa_exception_fp_ieee_inexact 0
		.amdhsa_exception_int_div_zero 0
	.end_amdhsa_kernel
	.section	.text._ZN2at6native32tensor_kernel_scan_innermost_dimIfSt10multipliesIfEEEvPT_PKS4_jjjS4_T0_,"axG",@progbits,_ZN2at6native32tensor_kernel_scan_innermost_dimIfSt10multipliesIfEEEvPT_PKS4_jjjS4_T0_,comdat
.Lfunc_end60:
	.size	_ZN2at6native32tensor_kernel_scan_innermost_dimIfSt10multipliesIfEEEvPT_PKS4_jjjS4_T0_, .Lfunc_end60-_ZN2at6native32tensor_kernel_scan_innermost_dimIfSt10multipliesIfEEEvPT_PKS4_jjjS4_T0_
                                        ; -- End function
	.section	.AMDGPU.csdata,"",@progbits
; Kernel info:
; codeLenInByte = 2008
; NumSgprs: 28
; NumVgprs: 20
; ScratchSize: 0
; MemoryBound: 0
; FloatMode: 240
; IeeeMode: 1
; LDSByteSize: 0 bytes/workgroup (compile time only)
; SGPRBlocks: 3
; VGPRBlocks: 2
; NumSGPRsForWavesPerEU: 28
; NumVGPRsForWavesPerEU: 20
; Occupancy: 16
; WaveLimiterHint : 0
; COMPUTE_PGM_RSRC2:SCRATCH_EN: 0
; COMPUTE_PGM_RSRC2:USER_SGPR: 15
; COMPUTE_PGM_RSRC2:TRAP_HANDLER: 0
; COMPUTE_PGM_RSRC2:TGID_X_EN: 1
; COMPUTE_PGM_RSRC2:TGID_Y_EN: 0
; COMPUTE_PGM_RSRC2:TGID_Z_EN: 0
; COMPUTE_PGM_RSRC2:TIDIG_COMP_CNT: 1
	.section	.text._ZN2at6native28tensor_kernel_scan_outer_dimIfjSt10multipliesIfEEEvPT_PKS4_jjjS4_T1_,"axG",@progbits,_ZN2at6native28tensor_kernel_scan_outer_dimIfjSt10multipliesIfEEEvPT_PKS4_jjjS4_T1_,comdat
	.protected	_ZN2at6native28tensor_kernel_scan_outer_dimIfjSt10multipliesIfEEEvPT_PKS4_jjjS4_T1_ ; -- Begin function _ZN2at6native28tensor_kernel_scan_outer_dimIfjSt10multipliesIfEEEvPT_PKS4_jjjS4_T1_
	.globl	_ZN2at6native28tensor_kernel_scan_outer_dimIfjSt10multipliesIfEEEvPT_PKS4_jjjS4_T1_
	.p2align	8
	.type	_ZN2at6native28tensor_kernel_scan_outer_dimIfjSt10multipliesIfEEEvPT_PKS4_jjjS4_T1_,@function
_ZN2at6native28tensor_kernel_scan_outer_dimIfjSt10multipliesIfEEEvPT_PKS4_jjjS4_T1_: ; @_ZN2at6native28tensor_kernel_scan_outer_dimIfjSt10multipliesIfEEEvPT_PKS4_jjjS4_T1_
; %bb.0:
	s_load_b128 s[4:7], s[0:1], 0x10
	s_waitcnt lgkmcnt(0)
	s_cmp_ge_u32 s14, s4
	s_cbranch_scc1 .LBB61_9
; %bb.1:
	s_clause 0x2
	s_load_b32 s12, s[0:1], 0x34
	s_load_b32 s20, s[0:1], 0x28
	s_load_b128 s[8:11], s[0:1], 0x0
	s_add_u32 s2, s0, 40
	s_addc_u32 s3, s1, 0
	s_mul_i32 s0, s14, s6
	v_mov_b32_e32 v3, 0
	s_mul_i32 s18, s0, s5
	s_mov_b32 s13, 0
	s_waitcnt lgkmcnt(0)
	s_and_b32 s1, s12, 0xffff
	s_mov_b32 s12, s5
	v_mad_u64_u32 v[1:2], null, s15, s1, v[0:1]
	s_cmp_lg_u32 s6, 0
	s_mul_i32 s21, s20, s6
	s_cselect_b32 s15, -1, 0
	s_mul_i32 s21, s21, s5
	s_lshl_b64 s[16:17], s[12:13], 2
	s_mov_b32 s12, s18
	s_delay_alu instid0(VALU_DEP_1)
	v_cmp_gt_u32_e64 s0, s5, v1
	s_set_inst_prefetch_distance 0x1
	s_branch .LBB61_3
	.p2align	6
.LBB61_2:                               ;   in Loop: Header=BB61_3 Depth=1
	s_or_b32 exec_lo, exec_lo, s22
	s_add_i32 s14, s20, s14
	s_add_i32 s12, s12, s21
	s_cmp_ge_u32 s14, s4
	s_cbranch_scc1 .LBB61_9
.LBB61_3:                               ; =>This Loop Header: Depth=1
                                        ;     Child Loop BB61_6 Depth 2
                                        ;       Child Loop BB61_8 Depth 3
	s_delay_alu instid0(VALU_DEP_1)
	s_and_saveexec_b32 s22, s0
	s_cbranch_execz .LBB61_2
; %bb.4:                                ;   in Loop: Header=BB61_3 Depth=1
	s_load_b32 s23, s[2:3], 0x4
	v_mov_b32_e32 v2, v1
	s_lshl_b64 s[18:19], s[12:13], 2
	s_mov_b32 s24, 0
	s_waitcnt lgkmcnt(0)
	s_mul_i32 s23, s23, s1
	s_branch .LBB61_6
	.p2align	6
.LBB61_5:                               ;   in Loop: Header=BB61_6 Depth=2
	v_add_nc_u32_e32 v2, s23, v2
	s_delay_alu instid0(VALU_DEP_1) | instskip(SKIP_1) | instid1(SALU_CYCLE_1)
	v_cmp_le_u32_e32 vcc_lo, s5, v2
	s_or_b32 s24, vcc_lo, s24
	s_and_not1_b32 exec_lo, exec_lo, s24
	s_cbranch_execz .LBB61_2
.LBB61_6:                               ;   Parent Loop BB61_3 Depth=1
                                        ; =>  This Loop Header: Depth=2
                                        ;       Child Loop BB61_8 Depth 3
	s_and_not1_b32 vcc_lo, exec_lo, s15
	s_cbranch_vccnz .LBB61_5
; %bb.7:                                ;   in Loop: Header=BB61_6 Depth=2
	v_lshlrev_b64 v[4:5], 2, v[2:3]
	s_mov_b32 s25, s6
	s_delay_alu instid0(VALU_DEP_1) | instskip(NEXT) | instid1(VALU_DEP_2)
	v_add_co_u32 v0, vcc_lo, s18, v4
	v_add_co_ci_u32_e32 v4, vcc_lo, s19, v5, vcc_lo
	v_mov_b32_e32 v5, s7
	.p2align	6
.LBB61_8:                               ;   Parent Loop BB61_3 Depth=1
                                        ;     Parent Loop BB61_6 Depth=2
                                        ; =>    This Inner Loop Header: Depth=3
	s_delay_alu instid0(VALU_DEP_3) | instskip(NEXT) | instid1(VALU_DEP_3)
	v_add_co_u32 v6, vcc_lo, s10, v0
	v_add_co_ci_u32_e32 v7, vcc_lo, s11, v4, vcc_lo
	s_add_i32 s25, s25, -1
	s_delay_alu instid0(SALU_CYCLE_1)
	s_cmp_eq_u32 s25, 0
	global_load_b32 v8, v[6:7], off
	v_add_co_u32 v6, vcc_lo, s8, v0
	v_add_co_ci_u32_e32 v7, vcc_lo, s9, v4, vcc_lo
	v_add_co_u32 v0, vcc_lo, v0, s16
	v_add_co_ci_u32_e32 v4, vcc_lo, s17, v4, vcc_lo
	s_waitcnt vmcnt(0)
	v_mul_f32_e32 v5, v5, v8
	global_store_b32 v[6:7], v5, off
	s_cbranch_scc0 .LBB61_8
	s_branch .LBB61_5
.LBB61_9:
	s_set_inst_prefetch_distance 0x2
	s_nop 0
	s_sendmsg sendmsg(MSG_DEALLOC_VGPRS)
	s_endpgm
	.section	.rodata,"a",@progbits
	.p2align	6, 0x0
	.amdhsa_kernel _ZN2at6native28tensor_kernel_scan_outer_dimIfjSt10multipliesIfEEEvPT_PKS4_jjjS4_T1_
		.amdhsa_group_segment_fixed_size 0
		.amdhsa_private_segment_fixed_size 0
		.amdhsa_kernarg_size 296
		.amdhsa_user_sgpr_count 14
		.amdhsa_user_sgpr_dispatch_ptr 0
		.amdhsa_user_sgpr_queue_ptr 0
		.amdhsa_user_sgpr_kernarg_segment_ptr 1
		.amdhsa_user_sgpr_dispatch_id 0
		.amdhsa_user_sgpr_private_segment_size 0
		.amdhsa_wavefront_size32 1
		.amdhsa_uses_dynamic_stack 0
		.amdhsa_enable_private_segment 0
		.amdhsa_system_sgpr_workgroup_id_x 1
		.amdhsa_system_sgpr_workgroup_id_y 1
		.amdhsa_system_sgpr_workgroup_id_z 0
		.amdhsa_system_sgpr_workgroup_info 0
		.amdhsa_system_vgpr_workitem_id 0
		.amdhsa_next_free_vgpr 9
		.amdhsa_next_free_sgpr 26
		.amdhsa_reserve_vcc 1
		.amdhsa_float_round_mode_32 0
		.amdhsa_float_round_mode_16_64 0
		.amdhsa_float_denorm_mode_32 3
		.amdhsa_float_denorm_mode_16_64 3
		.amdhsa_dx10_clamp 1
		.amdhsa_ieee_mode 1
		.amdhsa_fp16_overflow 0
		.amdhsa_workgroup_processor_mode 1
		.amdhsa_memory_ordered 1
		.amdhsa_forward_progress 0
		.amdhsa_shared_vgpr_count 0
		.amdhsa_exception_fp_ieee_invalid_op 0
		.amdhsa_exception_fp_denorm_src 0
		.amdhsa_exception_fp_ieee_div_zero 0
		.amdhsa_exception_fp_ieee_overflow 0
		.amdhsa_exception_fp_ieee_underflow 0
		.amdhsa_exception_fp_ieee_inexact 0
		.amdhsa_exception_int_div_zero 0
	.end_amdhsa_kernel
	.section	.text._ZN2at6native28tensor_kernel_scan_outer_dimIfjSt10multipliesIfEEEvPT_PKS4_jjjS4_T1_,"axG",@progbits,_ZN2at6native28tensor_kernel_scan_outer_dimIfjSt10multipliesIfEEEvPT_PKS4_jjjS4_T1_,comdat
.Lfunc_end61:
	.size	_ZN2at6native28tensor_kernel_scan_outer_dimIfjSt10multipliesIfEEEvPT_PKS4_jjjS4_T1_, .Lfunc_end61-_ZN2at6native28tensor_kernel_scan_outer_dimIfjSt10multipliesIfEEEvPT_PKS4_jjjS4_T1_
                                        ; -- End function
	.section	.AMDGPU.csdata,"",@progbits
; Kernel info:
; codeLenInByte = 368
; NumSgprs: 28
; NumVgprs: 9
; ScratchSize: 0
; MemoryBound: 0
; FloatMode: 240
; IeeeMode: 1
; LDSByteSize: 0 bytes/workgroup (compile time only)
; SGPRBlocks: 3
; VGPRBlocks: 1
; NumSGPRsForWavesPerEU: 28
; NumVGPRsForWavesPerEU: 9
; Occupancy: 16
; WaveLimiterHint : 0
; COMPUTE_PGM_RSRC2:SCRATCH_EN: 0
; COMPUTE_PGM_RSRC2:USER_SGPR: 14
; COMPUTE_PGM_RSRC2:TRAP_HANDLER: 0
; COMPUTE_PGM_RSRC2:TGID_X_EN: 1
; COMPUTE_PGM_RSRC2:TGID_Y_EN: 1
; COMPUTE_PGM_RSRC2:TGID_Z_EN: 0
; COMPUTE_PGM_RSRC2:TIDIG_COMP_CNT: 0
	.section	.text._ZN2at6native28tensor_kernel_scan_outer_dimIfmSt10multipliesIfEEEvPT_PKS4_jjjS4_T1_,"axG",@progbits,_ZN2at6native28tensor_kernel_scan_outer_dimIfmSt10multipliesIfEEEvPT_PKS4_jjjS4_T1_,comdat
	.protected	_ZN2at6native28tensor_kernel_scan_outer_dimIfmSt10multipliesIfEEEvPT_PKS4_jjjS4_T1_ ; -- Begin function _ZN2at6native28tensor_kernel_scan_outer_dimIfmSt10multipliesIfEEEvPT_PKS4_jjjS4_T1_
	.globl	_ZN2at6native28tensor_kernel_scan_outer_dimIfmSt10multipliesIfEEEvPT_PKS4_jjjS4_T1_
	.p2align	8
	.type	_ZN2at6native28tensor_kernel_scan_outer_dimIfmSt10multipliesIfEEEvPT_PKS4_jjjS4_T1_,@function
_ZN2at6native28tensor_kernel_scan_outer_dimIfmSt10multipliesIfEEEvPT_PKS4_jjjS4_T1_: ; @_ZN2at6native28tensor_kernel_scan_outer_dimIfmSt10multipliesIfEEEvPT_PKS4_jjjS4_T1_
; %bb.0:
	s_load_b128 s[4:7], s[0:1], 0x10
	s_waitcnt lgkmcnt(0)
	s_cmp_ge_u32 s14, s4
	s_cbranch_scc1 .LBB62_9
; %bb.1:
	s_clause 0x2
	s_load_b32 s12, s[0:1], 0x34
	s_load_b128 s[8:11], s[0:1], 0x0
	s_load_b32 s18, s[0:1], 0x28
	s_add_u32 s2, s0, 40
	s_addc_u32 s3, s1, 0
	v_mov_b32_e32 v3, 0
	s_mov_b32 s17, 0
	s_mul_hi_u32 s13, s6, s5
	s_mov_b32 s16, s5
	s_waitcnt lgkmcnt(0)
	s_and_b32 s1, s12, 0xffff
	s_cmp_lg_u32 s6, 0
	v_mad_u64_u32 v[1:2], null, s15, s1, v[0:1]
	s_mul_i32 s12, s6, s5
	s_cselect_b32 s15, -1, 0
	s_lshl_b64 s[12:13], s[12:13], 2
	s_lshl_b64 s[16:17], s[16:17], 2
	s_delay_alu instid0(VALU_DEP_1)
	v_cmp_gt_u32_e64 s0, s5, v1
	s_set_inst_prefetch_distance 0x1
	s_branch .LBB62_3
	.p2align	6
.LBB62_2:                               ;   in Loop: Header=BB62_3 Depth=1
	s_or_b32 exec_lo, exec_lo, s19
	s_add_i32 s14, s14, s18
	s_delay_alu instid0(SALU_CYCLE_1)
	s_cmp_ge_u32 s14, s4
	s_cbranch_scc1 .LBB62_9
.LBB62_3:                               ; =>This Loop Header: Depth=1
                                        ;     Child Loop BB62_6 Depth 2
                                        ;       Child Loop BB62_8 Depth 3
	s_delay_alu instid0(VALU_DEP_1)
	s_and_saveexec_b32 s19, s0
	s_cbranch_execz .LBB62_2
; %bb.4:                                ;   in Loop: Header=BB62_3 Depth=1
	s_load_b32 s22, s[2:3], 0x4
	v_mov_b32_e32 v2, v1
	s_mul_i32 s21, s13, s14
	s_mul_hi_u32 s23, s12, s14
	s_mul_i32 s20, s12, s14
	s_add_i32 s21, s23, s21
	s_mov_b32 s23, 0
	s_waitcnt lgkmcnt(0)
	s_mul_i32 s22, s22, s1
	s_branch .LBB62_6
	.p2align	6
.LBB62_5:                               ;   in Loop: Header=BB62_6 Depth=2
	v_add_nc_u32_e32 v2, s22, v2
	s_delay_alu instid0(VALU_DEP_1) | instskip(SKIP_1) | instid1(SALU_CYCLE_1)
	v_cmp_le_u32_e32 vcc_lo, s5, v2
	s_or_b32 s23, vcc_lo, s23
	s_and_not1_b32 exec_lo, exec_lo, s23
	s_cbranch_execz .LBB62_2
.LBB62_6:                               ;   Parent Loop BB62_3 Depth=1
                                        ; =>  This Loop Header: Depth=2
                                        ;       Child Loop BB62_8 Depth 3
	s_and_not1_b32 vcc_lo, exec_lo, s15
	s_cbranch_vccnz .LBB62_5
; %bb.7:                                ;   in Loop: Header=BB62_6 Depth=2
	v_lshlrev_b64 v[4:5], 2, v[2:3]
	s_mov_b32 s24, s6
	s_delay_alu instid0(VALU_DEP_1) | instskip(NEXT) | instid1(VALU_DEP_2)
	v_add_co_u32 v0, vcc_lo, s20, v4
	v_add_co_ci_u32_e32 v4, vcc_lo, s21, v5, vcc_lo
	v_mov_b32_e32 v5, s7
	.p2align	6
.LBB62_8:                               ;   Parent Loop BB62_3 Depth=1
                                        ;     Parent Loop BB62_6 Depth=2
                                        ; =>    This Inner Loop Header: Depth=3
	s_delay_alu instid0(VALU_DEP_3) | instskip(NEXT) | instid1(VALU_DEP_3)
	v_add_co_u32 v6, vcc_lo, s10, v0
	v_add_co_ci_u32_e32 v7, vcc_lo, s11, v4, vcc_lo
	s_add_i32 s24, s24, -1
	s_delay_alu instid0(SALU_CYCLE_1)
	s_cmp_eq_u32 s24, 0
	global_load_b32 v8, v[6:7], off
	v_add_co_u32 v6, vcc_lo, s8, v0
	v_add_co_ci_u32_e32 v7, vcc_lo, s9, v4, vcc_lo
	v_add_co_u32 v0, vcc_lo, v0, s16
	v_add_co_ci_u32_e32 v4, vcc_lo, s17, v4, vcc_lo
	s_waitcnt vmcnt(0)
	v_mul_f32_e32 v5, v5, v8
	global_store_b32 v[6:7], v5, off
	s_cbranch_scc0 .LBB62_8
	s_branch .LBB62_5
.LBB62_9:
	s_set_inst_prefetch_distance 0x2
	s_nop 0
	s_sendmsg sendmsg(MSG_DEALLOC_VGPRS)
	s_endpgm
	.section	.rodata,"a",@progbits
	.p2align	6, 0x0
	.amdhsa_kernel _ZN2at6native28tensor_kernel_scan_outer_dimIfmSt10multipliesIfEEEvPT_PKS4_jjjS4_T1_
		.amdhsa_group_segment_fixed_size 0
		.amdhsa_private_segment_fixed_size 0
		.amdhsa_kernarg_size 296
		.amdhsa_user_sgpr_count 14
		.amdhsa_user_sgpr_dispatch_ptr 0
		.amdhsa_user_sgpr_queue_ptr 0
		.amdhsa_user_sgpr_kernarg_segment_ptr 1
		.amdhsa_user_sgpr_dispatch_id 0
		.amdhsa_user_sgpr_private_segment_size 0
		.amdhsa_wavefront_size32 1
		.amdhsa_uses_dynamic_stack 0
		.amdhsa_enable_private_segment 0
		.amdhsa_system_sgpr_workgroup_id_x 1
		.amdhsa_system_sgpr_workgroup_id_y 1
		.amdhsa_system_sgpr_workgroup_id_z 0
		.amdhsa_system_sgpr_workgroup_info 0
		.amdhsa_system_vgpr_workitem_id 0
		.amdhsa_next_free_vgpr 9
		.amdhsa_next_free_sgpr 25
		.amdhsa_reserve_vcc 1
		.amdhsa_float_round_mode_32 0
		.amdhsa_float_round_mode_16_64 0
		.amdhsa_float_denorm_mode_32 3
		.amdhsa_float_denorm_mode_16_64 3
		.amdhsa_dx10_clamp 1
		.amdhsa_ieee_mode 1
		.amdhsa_fp16_overflow 0
		.amdhsa_workgroup_processor_mode 1
		.amdhsa_memory_ordered 1
		.amdhsa_forward_progress 0
		.amdhsa_shared_vgpr_count 0
		.amdhsa_exception_fp_ieee_invalid_op 0
		.amdhsa_exception_fp_denorm_src 0
		.amdhsa_exception_fp_ieee_div_zero 0
		.amdhsa_exception_fp_ieee_overflow 0
		.amdhsa_exception_fp_ieee_underflow 0
		.amdhsa_exception_fp_ieee_inexact 0
		.amdhsa_exception_int_div_zero 0
	.end_amdhsa_kernel
	.section	.text._ZN2at6native28tensor_kernel_scan_outer_dimIfmSt10multipliesIfEEEvPT_PKS4_jjjS4_T1_,"axG",@progbits,_ZN2at6native28tensor_kernel_scan_outer_dimIfmSt10multipliesIfEEEvPT_PKS4_jjjS4_T1_,comdat
.Lfunc_end62:
	.size	_ZN2at6native28tensor_kernel_scan_outer_dimIfmSt10multipliesIfEEEvPT_PKS4_jjjS4_T1_, .Lfunc_end62-_ZN2at6native28tensor_kernel_scan_outer_dimIfmSt10multipliesIfEEEvPT_PKS4_jjjS4_T1_
                                        ; -- End function
	.section	.AMDGPU.csdata,"",@progbits
; Kernel info:
; codeLenInByte = 372
; NumSgprs: 27
; NumVgprs: 9
; ScratchSize: 0
; MemoryBound: 0
; FloatMode: 240
; IeeeMode: 1
; LDSByteSize: 0 bytes/workgroup (compile time only)
; SGPRBlocks: 3
; VGPRBlocks: 1
; NumSGPRsForWavesPerEU: 27
; NumVGPRsForWavesPerEU: 9
; Occupancy: 16
; WaveLimiterHint : 0
; COMPUTE_PGM_RSRC2:SCRATCH_EN: 0
; COMPUTE_PGM_RSRC2:USER_SGPR: 14
; COMPUTE_PGM_RSRC2:TRAP_HANDLER: 0
; COMPUTE_PGM_RSRC2:TGID_X_EN: 1
; COMPUTE_PGM_RSRC2:TGID_Y_EN: 1
; COMPUTE_PGM_RSRC2:TGID_Z_EN: 0
; COMPUTE_PGM_RSRC2:TIDIG_COMP_CNT: 0
	.section	.text._ZN7rocprim17ROCPRIM_304000_NS6detail31init_lookback_scan_state_kernelINS1_19lookback_scan_stateIN3c107complexIdEELb1ELb0EEEEEvT_jjPNS8_10value_typeE,"axG",@progbits,_ZN7rocprim17ROCPRIM_304000_NS6detail31init_lookback_scan_state_kernelINS1_19lookback_scan_stateIN3c107complexIdEELb1ELb0EEEEEvT_jjPNS8_10value_typeE,comdat
	.protected	_ZN7rocprim17ROCPRIM_304000_NS6detail31init_lookback_scan_state_kernelINS1_19lookback_scan_stateIN3c107complexIdEELb1ELb0EEEEEvT_jjPNS8_10value_typeE ; -- Begin function _ZN7rocprim17ROCPRIM_304000_NS6detail31init_lookback_scan_state_kernelINS1_19lookback_scan_stateIN3c107complexIdEELb1ELb0EEEEEvT_jjPNS8_10value_typeE
	.globl	_ZN7rocprim17ROCPRIM_304000_NS6detail31init_lookback_scan_state_kernelINS1_19lookback_scan_stateIN3c107complexIdEELb1ELb0EEEEEvT_jjPNS8_10value_typeE
	.p2align	8
	.type	_ZN7rocprim17ROCPRIM_304000_NS6detail31init_lookback_scan_state_kernelINS1_19lookback_scan_stateIN3c107complexIdEELb1ELb0EEEEEvT_jjPNS8_10value_typeE,@function
_ZN7rocprim17ROCPRIM_304000_NS6detail31init_lookback_scan_state_kernelINS1_19lookback_scan_stateIN3c107complexIdEELb1ELb0EEEEEvT_jjPNS8_10value_typeE: ; @_ZN7rocprim17ROCPRIM_304000_NS6detail31init_lookback_scan_state_kernelINS1_19lookback_scan_stateIN3c107complexIdEELb1ELb0EEEEEvT_jjPNS8_10value_typeE
; %bb.0:
	s_clause 0x2
	s_load_b32 s2, s[0:1], 0x34
	s_load_b64 s[8:9], s[0:1], 0x20
	s_load_b128 s[4:7], s[0:1], 0x10
	s_waitcnt lgkmcnt(0)
	s_and_b32 s2, s2, 0xffff
	s_cmp_eq_u64 s[8:9], 0
	v_mad_u64_u32 v[1:2], null, s15, s2, v[0:1]
	s_cbranch_scc1 .LBB63_11
; %bb.1:
	s_cmp_lt_u32 s7, s6
	s_mov_b32 s11, 0
	s_cselect_b32 s2, s7, 0
	s_mov_b32 s14, exec_lo
	s_delay_alu instid0(VALU_DEP_1)
	v_cmpx_eq_u32_e64 s2, v1
	s_cbranch_execz .LBB63_10
; %bb.2:
	s_add_i32 s10, s7, 32
	s_load_b128 s[0:3], s[0:1], 0x0
	v_mov_b32_e32 v0, s10
	s_add_u32 s12, s4, s10
	s_addc_u32 s13, s5, 0
	global_load_u8 v0, v0, s[4:5] glc
	s_waitcnt vmcnt(0)
	v_cmp_ne_u16_e32 vcc_lo, 0, v0
	v_readfirstlane_b32 s7, v0
	s_cbranch_vccz .LBB63_4
; %bb.3:
	s_delay_alu instid0(VALU_DEP_1)
	s_and_b32 s7, 0xffff, s7
	s_branch .LBB63_9
.LBB63_4:
	v_mov_b32_e32 v0, 0
	s_mov_b32 s7, 1
.LBB63_5:                               ; =>This Loop Header: Depth=1
                                        ;     Child Loop BB63_6 Depth 2
	s_delay_alu instid0(SALU_CYCLE_1)
	s_max_u32 s15, s7, 1
.LBB63_6:                               ;   Parent Loop BB63_5 Depth=1
                                        ; =>  This Inner Loop Header: Depth=2
	s_delay_alu instid0(SALU_CYCLE_1)
	s_add_i32 s15, s15, -1
	s_sleep 1
	s_cmp_eq_u32 s15, 0
	s_cbranch_scc0 .LBB63_6
; %bb.7:                                ;   in Loop: Header=BB63_5 Depth=1
	global_load_u8 v2, v0, s[12:13] glc
	s_cmp_lt_u32 s7, 32
	s_cselect_b32 s15, -1, 0
	s_delay_alu instid0(SALU_CYCLE_1)
	s_cmp_lg_u32 s15, 0
	s_addc_u32 s7, s7, 0
	s_waitcnt vmcnt(0)
	v_cmp_ne_u16_e32 vcc_lo, 0, v2
	v_readfirstlane_b32 s15, v2
	s_cbranch_vccz .LBB63_5
; %bb.8:
	s_delay_alu instid0(VALU_DEP_1)
	s_and_b32 s7, 0xffff, s15
.LBB63_9:
	s_delay_alu instid0(SALU_CYCLE_1)
	s_cmp_eq_u32 s7, 1
	v_mov_b32_e32 v0, 0
	s_waitcnt lgkmcnt(0)
	s_cselect_b32 s3, s1, s3
	s_cselect_b32 s2, s0, s2
	s_lshl_b64 s[0:1], s[10:11], 4
	buffer_gl1_inv
	buffer_gl0_inv
	s_add_u32 s0, s2, s0
	s_addc_u32 s1, s3, s1
	global_load_b128 v[2:5], v0, s[0:1]
	s_waitcnt vmcnt(0)
	global_store_b128 v0, v[2:5], s[8:9]
.LBB63_10:
	s_or_b32 exec_lo, exec_lo, s14
.LBB63_11:
	s_delay_alu instid0(SALU_CYCLE_1) | instskip(NEXT) | instid1(VALU_DEP_1)
	s_mov_b32 s0, exec_lo
	v_cmpx_gt_u32_e64 s6, v1
	s_cbranch_execz .LBB63_13
; %bb.12:
	v_add_nc_u32_e32 v0, 32, v1
	v_mov_b32_e32 v2, 0
	global_store_b8 v0, v2, s[4:5]
.LBB63_13:
	s_or_b32 exec_lo, exec_lo, s0
	s_delay_alu instid0(SALU_CYCLE_1)
	s_mov_b32 s0, exec_lo
	v_cmpx_gt_u32_e32 32, v1
	s_cbranch_execz .LBB63_15
; %bb.14:
	v_mov_b32_e32 v0, 0xff
	global_store_b8 v1, v0, s[4:5]
.LBB63_15:
	s_nop 0
	s_sendmsg sendmsg(MSG_DEALLOC_VGPRS)
	s_endpgm
	.section	.rodata,"a",@progbits
	.p2align	6, 0x0
	.amdhsa_kernel _ZN7rocprim17ROCPRIM_304000_NS6detail31init_lookback_scan_state_kernelINS1_19lookback_scan_stateIN3c107complexIdEELb1ELb0EEEEEvT_jjPNS8_10value_typeE
		.amdhsa_group_segment_fixed_size 0
		.amdhsa_private_segment_fixed_size 0
		.amdhsa_kernarg_size 296
		.amdhsa_user_sgpr_count 15
		.amdhsa_user_sgpr_dispatch_ptr 0
		.amdhsa_user_sgpr_queue_ptr 0
		.amdhsa_user_sgpr_kernarg_segment_ptr 1
		.amdhsa_user_sgpr_dispatch_id 0
		.amdhsa_user_sgpr_private_segment_size 0
		.amdhsa_wavefront_size32 1
		.amdhsa_uses_dynamic_stack 0
		.amdhsa_enable_private_segment 0
		.amdhsa_system_sgpr_workgroup_id_x 1
		.amdhsa_system_sgpr_workgroup_id_y 0
		.amdhsa_system_sgpr_workgroup_id_z 0
		.amdhsa_system_sgpr_workgroup_info 0
		.amdhsa_system_vgpr_workitem_id 0
		.amdhsa_next_free_vgpr 6
		.amdhsa_next_free_sgpr 16
		.amdhsa_reserve_vcc 1
		.amdhsa_float_round_mode_32 0
		.amdhsa_float_round_mode_16_64 0
		.amdhsa_float_denorm_mode_32 3
		.amdhsa_float_denorm_mode_16_64 3
		.amdhsa_dx10_clamp 1
		.amdhsa_ieee_mode 1
		.amdhsa_fp16_overflow 0
		.amdhsa_workgroup_processor_mode 1
		.amdhsa_memory_ordered 1
		.amdhsa_forward_progress 0
		.amdhsa_shared_vgpr_count 0
		.amdhsa_exception_fp_ieee_invalid_op 0
		.amdhsa_exception_fp_denorm_src 0
		.amdhsa_exception_fp_ieee_div_zero 0
		.amdhsa_exception_fp_ieee_overflow 0
		.amdhsa_exception_fp_ieee_underflow 0
		.amdhsa_exception_fp_ieee_inexact 0
		.amdhsa_exception_int_div_zero 0
	.end_amdhsa_kernel
	.section	.text._ZN7rocprim17ROCPRIM_304000_NS6detail31init_lookback_scan_state_kernelINS1_19lookback_scan_stateIN3c107complexIdEELb1ELb0EEEEEvT_jjPNS8_10value_typeE,"axG",@progbits,_ZN7rocprim17ROCPRIM_304000_NS6detail31init_lookback_scan_state_kernelINS1_19lookback_scan_stateIN3c107complexIdEELb1ELb0EEEEEvT_jjPNS8_10value_typeE,comdat
.Lfunc_end63:
	.size	_ZN7rocprim17ROCPRIM_304000_NS6detail31init_lookback_scan_state_kernelINS1_19lookback_scan_stateIN3c107complexIdEELb1ELb0EEEEEvT_jjPNS8_10value_typeE, .Lfunc_end63-_ZN7rocprim17ROCPRIM_304000_NS6detail31init_lookback_scan_state_kernelINS1_19lookback_scan_stateIN3c107complexIdEELb1ELb0EEEEEvT_jjPNS8_10value_typeE
                                        ; -- End function
	.section	.AMDGPU.csdata,"",@progbits
; Kernel info:
; codeLenInByte = 404
; NumSgprs: 18
; NumVgprs: 6
; ScratchSize: 0
; MemoryBound: 0
; FloatMode: 240
; IeeeMode: 1
; LDSByteSize: 0 bytes/workgroup (compile time only)
; SGPRBlocks: 2
; VGPRBlocks: 0
; NumSGPRsForWavesPerEU: 18
; NumVGPRsForWavesPerEU: 6
; Occupancy: 16
; WaveLimiterHint : 0
; COMPUTE_PGM_RSRC2:SCRATCH_EN: 0
; COMPUTE_PGM_RSRC2:USER_SGPR: 15
; COMPUTE_PGM_RSRC2:TRAP_HANDLER: 0
; COMPUTE_PGM_RSRC2:TGID_X_EN: 1
; COMPUTE_PGM_RSRC2:TGID_Y_EN: 0
; COMPUTE_PGM_RSRC2:TGID_Z_EN: 0
; COMPUTE_PGM_RSRC2:TIDIG_COMP_CNT: 0
	.section	.text._ZN7rocprim17ROCPRIM_304000_NS6detail31init_lookback_scan_state_kernelINS1_19lookback_scan_stateIN3c107complexIdEELb0ELb0EEEEEvT_jjPNS8_10value_typeE,"axG",@progbits,_ZN7rocprim17ROCPRIM_304000_NS6detail31init_lookback_scan_state_kernelINS1_19lookback_scan_stateIN3c107complexIdEELb0ELb0EEEEEvT_jjPNS8_10value_typeE,comdat
	.protected	_ZN7rocprim17ROCPRIM_304000_NS6detail31init_lookback_scan_state_kernelINS1_19lookback_scan_stateIN3c107complexIdEELb0ELb0EEEEEvT_jjPNS8_10value_typeE ; -- Begin function _ZN7rocprim17ROCPRIM_304000_NS6detail31init_lookback_scan_state_kernelINS1_19lookback_scan_stateIN3c107complexIdEELb0ELb0EEEEEvT_jjPNS8_10value_typeE
	.globl	_ZN7rocprim17ROCPRIM_304000_NS6detail31init_lookback_scan_state_kernelINS1_19lookback_scan_stateIN3c107complexIdEELb0ELb0EEEEEvT_jjPNS8_10value_typeE
	.p2align	8
	.type	_ZN7rocprim17ROCPRIM_304000_NS6detail31init_lookback_scan_state_kernelINS1_19lookback_scan_stateIN3c107complexIdEELb0ELb0EEEEEvT_jjPNS8_10value_typeE,@function
_ZN7rocprim17ROCPRIM_304000_NS6detail31init_lookback_scan_state_kernelINS1_19lookback_scan_stateIN3c107complexIdEELb0ELb0EEEEEvT_jjPNS8_10value_typeE: ; @_ZN7rocprim17ROCPRIM_304000_NS6detail31init_lookback_scan_state_kernelINS1_19lookback_scan_stateIN3c107complexIdEELb0ELb0EEEEEvT_jjPNS8_10value_typeE
; %bb.0:
	s_clause 0x2
	s_load_b32 s2, s[0:1], 0x34
	s_load_b64 s[8:9], s[0:1], 0x20
	s_load_b128 s[4:7], s[0:1], 0x10
	s_waitcnt lgkmcnt(0)
	s_and_b32 s2, s2, 0xffff
	s_cmp_eq_u64 s[8:9], 0
	v_mad_u64_u32 v[1:2], null, s15, s2, v[0:1]
	s_cbranch_scc1 .LBB64_7
; %bb.1:
	s_cmp_lt_u32 s7, s6
	s_mov_b32 s11, 0
	s_cselect_b32 s2, s7, 0
	s_mov_b32 s14, exec_lo
	s_delay_alu instid0(VALU_DEP_1)
	v_cmpx_eq_u32_e64 s2, v1
	s_cbranch_execz .LBB64_6
; %bb.2:
	s_add_i32 s10, s7, 32
	s_load_b128 s[0:3], s[0:1], 0x0
	v_mov_b32_e32 v0, s10
	s_add_u32 s12, s4, s10
	s_addc_u32 s13, s5, 0
	global_load_u8 v0, v0, s[4:5] glc
	s_waitcnt vmcnt(0)
	v_cmp_ne_u16_e32 vcc_lo, 0, v0
	v_readfirstlane_b32 s7, v0
	s_cbranch_vccnz .LBB64_5
; %bb.3:
	v_mov_b32_e32 v0, 0
.LBB64_4:                               ; =>This Inner Loop Header: Depth=1
	global_load_u8 v2, v0, s[12:13] glc
	s_waitcnt vmcnt(0)
	v_cmp_eq_u16_e32 vcc_lo, 0, v2
	v_readfirstlane_b32 s7, v2
	s_cbranch_vccnz .LBB64_4
.LBB64_5:
	s_delay_alu instid0(VALU_DEP_1)
	s_and_b32 s7, 0xffff, s7
	v_mov_b32_e32 v0, 0
	s_cmp_eq_u32 s7, 1
	s_waitcnt lgkmcnt(0)
	buffer_gl1_inv
	buffer_gl0_inv
	s_cselect_b32 s3, s1, s3
	s_cselect_b32 s2, s0, s2
	s_lshl_b64 s[0:1], s[10:11], 4
	s_delay_alu instid0(SALU_CYCLE_1)
	s_add_u32 s0, s2, s0
	s_addc_u32 s1, s3, s1
	global_load_b128 v[2:5], v0, s[0:1]
	s_waitcnt vmcnt(0)
	global_store_b128 v0, v[2:5], s[8:9]
.LBB64_6:
	s_or_b32 exec_lo, exec_lo, s14
.LBB64_7:
	s_delay_alu instid0(SALU_CYCLE_1) | instskip(NEXT) | instid1(VALU_DEP_1)
	s_mov_b32 s0, exec_lo
	v_cmpx_gt_u32_e64 s6, v1
	s_cbranch_execz .LBB64_9
; %bb.8:
	v_add_nc_u32_e32 v0, 32, v1
	v_mov_b32_e32 v2, 0
	global_store_b8 v0, v2, s[4:5]
.LBB64_9:
	s_or_b32 exec_lo, exec_lo, s0
	s_delay_alu instid0(SALU_CYCLE_1)
	s_mov_b32 s0, exec_lo
	v_cmpx_gt_u32_e32 32, v1
	s_cbranch_execz .LBB64_11
; %bb.10:
	v_mov_b32_e32 v0, 0xff
	global_store_b8 v1, v0, s[4:5]
.LBB64_11:
	s_nop 0
	s_sendmsg sendmsg(MSG_DEALLOC_VGPRS)
	s_endpgm
	.section	.rodata,"a",@progbits
	.p2align	6, 0x0
	.amdhsa_kernel _ZN7rocprim17ROCPRIM_304000_NS6detail31init_lookback_scan_state_kernelINS1_19lookback_scan_stateIN3c107complexIdEELb0ELb0EEEEEvT_jjPNS8_10value_typeE
		.amdhsa_group_segment_fixed_size 0
		.amdhsa_private_segment_fixed_size 0
		.amdhsa_kernarg_size 296
		.amdhsa_user_sgpr_count 15
		.amdhsa_user_sgpr_dispatch_ptr 0
		.amdhsa_user_sgpr_queue_ptr 0
		.amdhsa_user_sgpr_kernarg_segment_ptr 1
		.amdhsa_user_sgpr_dispatch_id 0
		.amdhsa_user_sgpr_private_segment_size 0
		.amdhsa_wavefront_size32 1
		.amdhsa_uses_dynamic_stack 0
		.amdhsa_enable_private_segment 0
		.amdhsa_system_sgpr_workgroup_id_x 1
		.amdhsa_system_sgpr_workgroup_id_y 0
		.amdhsa_system_sgpr_workgroup_id_z 0
		.amdhsa_system_sgpr_workgroup_info 0
		.amdhsa_system_vgpr_workitem_id 0
		.amdhsa_next_free_vgpr 6
		.amdhsa_next_free_sgpr 16
		.amdhsa_reserve_vcc 1
		.amdhsa_float_round_mode_32 0
		.amdhsa_float_round_mode_16_64 0
		.amdhsa_float_denorm_mode_32 3
		.amdhsa_float_denorm_mode_16_64 3
		.amdhsa_dx10_clamp 1
		.amdhsa_ieee_mode 1
		.amdhsa_fp16_overflow 0
		.amdhsa_workgroup_processor_mode 1
		.amdhsa_memory_ordered 1
		.amdhsa_forward_progress 0
		.amdhsa_shared_vgpr_count 0
		.amdhsa_exception_fp_ieee_invalid_op 0
		.amdhsa_exception_fp_denorm_src 0
		.amdhsa_exception_fp_ieee_div_zero 0
		.amdhsa_exception_fp_ieee_overflow 0
		.amdhsa_exception_fp_ieee_underflow 0
		.amdhsa_exception_fp_ieee_inexact 0
		.amdhsa_exception_int_div_zero 0
	.end_amdhsa_kernel
	.section	.text._ZN7rocprim17ROCPRIM_304000_NS6detail31init_lookback_scan_state_kernelINS1_19lookback_scan_stateIN3c107complexIdEELb0ELb0EEEEEvT_jjPNS8_10value_typeE,"axG",@progbits,_ZN7rocprim17ROCPRIM_304000_NS6detail31init_lookback_scan_state_kernelINS1_19lookback_scan_stateIN3c107complexIdEELb0ELb0EEEEEvT_jjPNS8_10value_typeE,comdat
.Lfunc_end64:
	.size	_ZN7rocprim17ROCPRIM_304000_NS6detail31init_lookback_scan_state_kernelINS1_19lookback_scan_stateIN3c107complexIdEELb0ELb0EEEEEvT_jjPNS8_10value_typeE, .Lfunc_end64-_ZN7rocprim17ROCPRIM_304000_NS6detail31init_lookback_scan_state_kernelINS1_19lookback_scan_stateIN3c107complexIdEELb0ELb0EEEEEvT_jjPNS8_10value_typeE
                                        ; -- End function
	.section	.AMDGPU.csdata,"",@progbits
; Kernel info:
; codeLenInByte = 336
; NumSgprs: 18
; NumVgprs: 6
; ScratchSize: 0
; MemoryBound: 0
; FloatMode: 240
; IeeeMode: 1
; LDSByteSize: 0 bytes/workgroup (compile time only)
; SGPRBlocks: 2
; VGPRBlocks: 0
; NumSGPRsForWavesPerEU: 18
; NumVGPRsForWavesPerEU: 6
; Occupancy: 16
; WaveLimiterHint : 0
; COMPUTE_PGM_RSRC2:SCRATCH_EN: 0
; COMPUTE_PGM_RSRC2:USER_SGPR: 15
; COMPUTE_PGM_RSRC2:TRAP_HANDLER: 0
; COMPUTE_PGM_RSRC2:TGID_X_EN: 1
; COMPUTE_PGM_RSRC2:TGID_Y_EN: 0
; COMPUTE_PGM_RSRC2:TGID_Z_EN: 0
; COMPUTE_PGM_RSRC2:TIDIG_COMP_CNT: 0
	.section	.text._ZN7rocprim17ROCPRIM_304000_NS6detail20lookback_scan_kernelILNS1_25lookback_scan_determinismE0ELb0ENS1_19wrapped_scan_configINS0_14default_configEN3c107complexIdEEEEPKS8_PS8_St10multipliesIS8_ES8_S8_NS1_19lookback_scan_stateIS8_Lb1ELb0EEEEEvT2_T3_mT5_T4_T7_jPT6_SN_bb,"axG",@progbits,_ZN7rocprim17ROCPRIM_304000_NS6detail20lookback_scan_kernelILNS1_25lookback_scan_determinismE0ELb0ENS1_19wrapped_scan_configINS0_14default_configEN3c107complexIdEEEEPKS8_PS8_St10multipliesIS8_ES8_S8_NS1_19lookback_scan_stateIS8_Lb1ELb0EEEEEvT2_T3_mT5_T4_T7_jPT6_SN_bb,comdat
	.protected	_ZN7rocprim17ROCPRIM_304000_NS6detail20lookback_scan_kernelILNS1_25lookback_scan_determinismE0ELb0ENS1_19wrapped_scan_configINS0_14default_configEN3c107complexIdEEEEPKS8_PS8_St10multipliesIS8_ES8_S8_NS1_19lookback_scan_stateIS8_Lb1ELb0EEEEEvT2_T3_mT5_T4_T7_jPT6_SN_bb ; -- Begin function _ZN7rocprim17ROCPRIM_304000_NS6detail20lookback_scan_kernelILNS1_25lookback_scan_determinismE0ELb0ENS1_19wrapped_scan_configINS0_14default_configEN3c107complexIdEEEEPKS8_PS8_St10multipliesIS8_ES8_S8_NS1_19lookback_scan_stateIS8_Lb1ELb0EEEEEvT2_T3_mT5_T4_T7_jPT6_SN_bb
	.globl	_ZN7rocprim17ROCPRIM_304000_NS6detail20lookback_scan_kernelILNS1_25lookback_scan_determinismE0ELb0ENS1_19wrapped_scan_configINS0_14default_configEN3c107complexIdEEEEPKS8_PS8_St10multipliesIS8_ES8_S8_NS1_19lookback_scan_stateIS8_Lb1ELb0EEEEEvT2_T3_mT5_T4_T7_jPT6_SN_bb
	.p2align	8
	.type	_ZN7rocprim17ROCPRIM_304000_NS6detail20lookback_scan_kernelILNS1_25lookback_scan_determinismE0ELb0ENS1_19wrapped_scan_configINS0_14default_configEN3c107complexIdEEEEPKS8_PS8_St10multipliesIS8_ES8_S8_NS1_19lookback_scan_stateIS8_Lb1ELb0EEEEEvT2_T3_mT5_T4_T7_jPT6_SN_bb,@function
_ZN7rocprim17ROCPRIM_304000_NS6detail20lookback_scan_kernelILNS1_25lookback_scan_determinismE0ELb0ENS1_19wrapped_scan_configINS0_14default_configEN3c107complexIdEEEEPKS8_PS8_St10multipliesIS8_ES8_S8_NS1_19lookback_scan_stateIS8_Lb1ELb0EEEEEvT2_T3_mT5_T4_T7_jPT6_SN_bb: ; @_ZN7rocprim17ROCPRIM_304000_NS6detail20lookback_scan_kernelILNS1_25lookback_scan_determinismE0ELb0ENS1_19wrapped_scan_configINS0_14default_configEN3c107complexIdEEEEPKS8_PS8_St10multipliesIS8_ES8_S8_NS1_19lookback_scan_stateIS8_Lb1ELb0EEEEEvT2_T3_mT5_T4_T7_jPT6_SN_bb
; %bb.0:
	s_endpgm
	.section	.rodata,"a",@progbits
	.p2align	6, 0x0
	.amdhsa_kernel _ZN7rocprim17ROCPRIM_304000_NS6detail20lookback_scan_kernelILNS1_25lookback_scan_determinismE0ELb0ENS1_19wrapped_scan_configINS0_14default_configEN3c107complexIdEEEEPKS8_PS8_St10multipliesIS8_ES8_S8_NS1_19lookback_scan_stateIS8_Lb1ELb0EEEEEvT2_T3_mT5_T4_T7_jPT6_SN_bb
		.amdhsa_group_segment_fixed_size 0
		.amdhsa_private_segment_fixed_size 0
		.amdhsa_kernarg_size 108
		.amdhsa_user_sgpr_count 15
		.amdhsa_user_sgpr_dispatch_ptr 0
		.amdhsa_user_sgpr_queue_ptr 0
		.amdhsa_user_sgpr_kernarg_segment_ptr 1
		.amdhsa_user_sgpr_dispatch_id 0
		.amdhsa_user_sgpr_private_segment_size 0
		.amdhsa_wavefront_size32 1
		.amdhsa_uses_dynamic_stack 0
		.amdhsa_enable_private_segment 0
		.amdhsa_system_sgpr_workgroup_id_x 1
		.amdhsa_system_sgpr_workgroup_id_y 0
		.amdhsa_system_sgpr_workgroup_id_z 0
		.amdhsa_system_sgpr_workgroup_info 0
		.amdhsa_system_vgpr_workitem_id 0
		.amdhsa_next_free_vgpr 1
		.amdhsa_next_free_sgpr 1
		.amdhsa_reserve_vcc 0
		.amdhsa_float_round_mode_32 0
		.amdhsa_float_round_mode_16_64 0
		.amdhsa_float_denorm_mode_32 3
		.amdhsa_float_denorm_mode_16_64 3
		.amdhsa_dx10_clamp 1
		.amdhsa_ieee_mode 1
		.amdhsa_fp16_overflow 0
		.amdhsa_workgroup_processor_mode 1
		.amdhsa_memory_ordered 1
		.amdhsa_forward_progress 0
		.amdhsa_shared_vgpr_count 0
		.amdhsa_exception_fp_ieee_invalid_op 0
		.amdhsa_exception_fp_denorm_src 0
		.amdhsa_exception_fp_ieee_div_zero 0
		.amdhsa_exception_fp_ieee_overflow 0
		.amdhsa_exception_fp_ieee_underflow 0
		.amdhsa_exception_fp_ieee_inexact 0
		.amdhsa_exception_int_div_zero 0
	.end_amdhsa_kernel
	.section	.text._ZN7rocprim17ROCPRIM_304000_NS6detail20lookback_scan_kernelILNS1_25lookback_scan_determinismE0ELb0ENS1_19wrapped_scan_configINS0_14default_configEN3c107complexIdEEEEPKS8_PS8_St10multipliesIS8_ES8_S8_NS1_19lookback_scan_stateIS8_Lb1ELb0EEEEEvT2_T3_mT5_T4_T7_jPT6_SN_bb,"axG",@progbits,_ZN7rocprim17ROCPRIM_304000_NS6detail20lookback_scan_kernelILNS1_25lookback_scan_determinismE0ELb0ENS1_19wrapped_scan_configINS0_14default_configEN3c107complexIdEEEEPKS8_PS8_St10multipliesIS8_ES8_S8_NS1_19lookback_scan_stateIS8_Lb1ELb0EEEEEvT2_T3_mT5_T4_T7_jPT6_SN_bb,comdat
.Lfunc_end65:
	.size	_ZN7rocprim17ROCPRIM_304000_NS6detail20lookback_scan_kernelILNS1_25lookback_scan_determinismE0ELb0ENS1_19wrapped_scan_configINS0_14default_configEN3c107complexIdEEEEPKS8_PS8_St10multipliesIS8_ES8_S8_NS1_19lookback_scan_stateIS8_Lb1ELb0EEEEEvT2_T3_mT5_T4_T7_jPT6_SN_bb, .Lfunc_end65-_ZN7rocprim17ROCPRIM_304000_NS6detail20lookback_scan_kernelILNS1_25lookback_scan_determinismE0ELb0ENS1_19wrapped_scan_configINS0_14default_configEN3c107complexIdEEEEPKS8_PS8_St10multipliesIS8_ES8_S8_NS1_19lookback_scan_stateIS8_Lb1ELb0EEEEEvT2_T3_mT5_T4_T7_jPT6_SN_bb
                                        ; -- End function
	.section	.AMDGPU.csdata,"",@progbits
; Kernel info:
; codeLenInByte = 4
; NumSgprs: 0
; NumVgprs: 0
; ScratchSize: 0
; MemoryBound: 0
; FloatMode: 240
; IeeeMode: 1
; LDSByteSize: 0 bytes/workgroup (compile time only)
; SGPRBlocks: 0
; VGPRBlocks: 0
; NumSGPRsForWavesPerEU: 1
; NumVGPRsForWavesPerEU: 1
; Occupancy: 16
; WaveLimiterHint : 0
; COMPUTE_PGM_RSRC2:SCRATCH_EN: 0
; COMPUTE_PGM_RSRC2:USER_SGPR: 15
; COMPUTE_PGM_RSRC2:TRAP_HANDLER: 0
; COMPUTE_PGM_RSRC2:TGID_X_EN: 1
; COMPUTE_PGM_RSRC2:TGID_Y_EN: 0
; COMPUTE_PGM_RSRC2:TGID_Z_EN: 0
; COMPUTE_PGM_RSRC2:TIDIG_COMP_CNT: 0
	.section	.text._ZN7rocprim17ROCPRIM_304000_NS6detail20lookback_scan_kernelILNS1_25lookback_scan_determinismE0ELb0ENS1_19wrapped_scan_configINS0_14default_configEN3c107complexIdEEEEPKS8_PS8_St10multipliesIS8_ES8_S8_NS1_19lookback_scan_stateIS8_Lb0ELb0EEEEEvT2_T3_mT5_T4_T7_jPT6_SN_bb,"axG",@progbits,_ZN7rocprim17ROCPRIM_304000_NS6detail20lookback_scan_kernelILNS1_25lookback_scan_determinismE0ELb0ENS1_19wrapped_scan_configINS0_14default_configEN3c107complexIdEEEEPKS8_PS8_St10multipliesIS8_ES8_S8_NS1_19lookback_scan_stateIS8_Lb0ELb0EEEEEvT2_T3_mT5_T4_T7_jPT6_SN_bb,comdat
	.protected	_ZN7rocprim17ROCPRIM_304000_NS6detail20lookback_scan_kernelILNS1_25lookback_scan_determinismE0ELb0ENS1_19wrapped_scan_configINS0_14default_configEN3c107complexIdEEEEPKS8_PS8_St10multipliesIS8_ES8_S8_NS1_19lookback_scan_stateIS8_Lb0ELb0EEEEEvT2_T3_mT5_T4_T7_jPT6_SN_bb ; -- Begin function _ZN7rocprim17ROCPRIM_304000_NS6detail20lookback_scan_kernelILNS1_25lookback_scan_determinismE0ELb0ENS1_19wrapped_scan_configINS0_14default_configEN3c107complexIdEEEEPKS8_PS8_St10multipliesIS8_ES8_S8_NS1_19lookback_scan_stateIS8_Lb0ELb0EEEEEvT2_T3_mT5_T4_T7_jPT6_SN_bb
	.globl	_ZN7rocprim17ROCPRIM_304000_NS6detail20lookback_scan_kernelILNS1_25lookback_scan_determinismE0ELb0ENS1_19wrapped_scan_configINS0_14default_configEN3c107complexIdEEEEPKS8_PS8_St10multipliesIS8_ES8_S8_NS1_19lookback_scan_stateIS8_Lb0ELb0EEEEEvT2_T3_mT5_T4_T7_jPT6_SN_bb
	.p2align	8
	.type	_ZN7rocprim17ROCPRIM_304000_NS6detail20lookback_scan_kernelILNS1_25lookback_scan_determinismE0ELb0ENS1_19wrapped_scan_configINS0_14default_configEN3c107complexIdEEEEPKS8_PS8_St10multipliesIS8_ES8_S8_NS1_19lookback_scan_stateIS8_Lb0ELb0EEEEEvT2_T3_mT5_T4_T7_jPT6_SN_bb,@function
_ZN7rocprim17ROCPRIM_304000_NS6detail20lookback_scan_kernelILNS1_25lookback_scan_determinismE0ELb0ENS1_19wrapped_scan_configINS0_14default_configEN3c107complexIdEEEEPKS8_PS8_St10multipliesIS8_ES8_S8_NS1_19lookback_scan_stateIS8_Lb0ELb0EEEEEvT2_T3_mT5_T4_T7_jPT6_SN_bb: ; @_ZN7rocprim17ROCPRIM_304000_NS6detail20lookback_scan_kernelILNS1_25lookback_scan_determinismE0ELb0ENS1_19wrapped_scan_configINS0_14default_configEN3c107complexIdEEEEPKS8_PS8_St10multipliesIS8_ES8_S8_NS1_19lookback_scan_stateIS8_Lb0ELb0EEEEEvT2_T3_mT5_T4_T7_jPT6_SN_bb
; %bb.0:
	s_clause 0x4
	s_load_b32 s14, s[0:1], 0x50
	s_load_b64 s[2:3], s[0:1], 0x10
	s_load_b128 s[4:7], s[0:1], 0x0
	s_load_b128 s[8:11], s[0:1], 0x38
	s_load_b64 s[22:23], s[0:1], 0x48
	s_lshl_b32 s12, s15, 11
	s_mov_b32 s13, 0
	v_lshlrev_b32_e32 v82, 4, v0
	v_lshrrev_b32_e32 v35, 1, v0
	v_or_b32_e32 v81, 0x100, v0
	v_or_b32_e32 v80, 0x200, v0
	v_or_b32_e32 v79, 0x300, v0
	v_or_b32_e32 v78, 0x400, v0
	v_or_b32_e32 v77, 0x500, v0
	v_or_b32_e32 v76, 0x600, v0
	v_or_b32_e32 v75, 0x700, v0
	s_waitcnt lgkmcnt(0)
	s_add_i32 s14, s14, -1
	s_delay_alu instid0(SALU_CYCLE_1) | instskip(NEXT) | instid1(SALU_CYCLE_1)
	s_lshl_b32 s16, s14, 11
	s_sub_u32 s24, s2, s16
	s_subb_u32 s25, s3, 0
	s_cmp_lg_u32 s15, s14
	s_mov_b32 s3, -1
	s_cselect_b32 s26, -1, 0
	s_lshl_b64 s[20:21], s[12:13], 4
	s_delay_alu instid0(SALU_CYCLE_1)
	s_add_u32 s4, s4, s20
	s_addc_u32 s5, s5, s21
	s_and_b32 vcc_lo, exec_lo, s26
	s_cbranch_vccz .LBB66_2
; %bb.1:
	v_add_co_u32 v11, s2, s4, v82
	s_delay_alu instid0(VALU_DEP_1) | instskip(SKIP_1) | instid1(VALU_DEP_3)
	v_add_co_ci_u32_e64 v12, null, s5, 0, s2
	v_lshrrev_b32_e32 v34, 1, v81
	v_add_co_u32 v9, vcc_lo, v11, 0x2000
	s_delay_alu instid0(VALU_DEP_3)
	v_add_co_ci_u32_e32 v10, vcc_lo, 0, v12, vcc_lo
	v_add_co_u32 v17, vcc_lo, v11, 0x4000
	v_add_co_ci_u32_e32 v18, vcc_lo, 0, v12, vcc_lo
	v_add_co_u32 v25, vcc_lo, v11, 0x6000
	;; [unrolled: 2-line block ×3, first 2 shown]
	v_add_co_ci_u32_e32 v30, vcc_lo, 0, v12, vcc_lo
	s_clause 0x7
	global_load_b128 v[1:4], v82, s[4:5]
	global_load_b128 v[5:8], v[9:10], off offset:-4096
	global_load_b128 v[9:12], v[9:10], off
	global_load_b128 v[13:16], v[17:18], off offset:-4096
	global_load_b128 v[17:20], v[17:18], off
	;; [unrolled: 2-line block ×3, first 2 shown]
	global_load_b128 v[29:32], v[29:30], off
	v_lshrrev_b32_e32 v36, 1, v80
	v_lshrrev_b32_e32 v37, 1, v79
	;; [unrolled: 1-line block ×3, first 2 shown]
	v_and_b32_e32 v33, 0x70, v35
	v_lshrrev_b32_e32 v39, 1, v77
	v_lshrrev_b32_e32 v40, 1, v76
	;; [unrolled: 1-line block ×3, first 2 shown]
	v_and_b32_e32 v34, 0xf0, v34
	v_and_b32_e32 v36, 0x170, v36
	;; [unrolled: 1-line block ×4, first 2 shown]
	v_add_nc_u32_e32 v33, v33, v82
	v_and_b32_e32 v39, 0x2f0, v39
	v_and_b32_e32 v40, 0x370, v40
	;; [unrolled: 1-line block ×3, first 2 shown]
	v_add_nc_u32_e32 v34, v34, v82
	v_add_nc_u32_e32 v36, v36, v82
	;; [unrolled: 1-line block ×4, first 2 shown]
	s_mov_b32 s3, 0
	v_add_nc_u32_e32 v39, v39, v82
	v_add_nc_u32_e32 v40, v40, v82
	;; [unrolled: 1-line block ×3, first 2 shown]
	s_waitcnt vmcnt(7)
	ds_store_b128 v33, v[1:4]
	s_waitcnt vmcnt(6)
	ds_store_b128 v34, v[5:8] offset:4096
	s_waitcnt vmcnt(5)
	ds_store_b128 v36, v[9:12] offset:8192
	;; [unrolled: 2-line block ×7, first 2 shown]
	s_waitcnt lgkmcnt(0)
	s_barrier
.LBB66_2:
	v_cmp_gt_u32_e64 s2, s24, v0
	s_and_not1_b32 vcc_lo, exec_lo, s3
	s_cbranch_vccnz .LBB66_20
; %bb.3:
	s_load_b128 s[16:19], s[4:5], 0x0
	v_add_co_u32 v33, s3, s4, v82
	s_delay_alu instid0(VALU_DEP_1)
	v_add_co_ci_u32_e64 v34, null, s5, 0, s3
	s_waitcnt lgkmcnt(0)
	v_dual_mov_b32 v3, s18 :: v_dual_mov_b32 v4, s19
	v_dual_mov_b32 v1, s16 :: v_dual_mov_b32 v2, s17
	s_and_saveexec_b32 s3, s2
	s_cbranch_execz .LBB66_5
; %bb.4:
	global_load_b128 v[1:4], v[33:34], off
.LBB66_5:
	s_or_b32 exec_lo, exec_lo, s3
	v_dual_mov_b32 v7, s18 :: v_dual_mov_b32 v8, s19
	v_dual_mov_b32 v5, s16 :: v_dual_mov_b32 v6, s17
	s_mov_b32 s2, exec_lo
	v_cmpx_gt_u32_e64 s24, v81
	s_cbranch_execz .LBB66_7
; %bb.6:
	v_add_co_u32 v5, vcc_lo, 0x1000, v33
	v_add_co_ci_u32_e32 v6, vcc_lo, 0, v34, vcc_lo
	global_load_b128 v[5:8], v[5:6], off
.LBB66_7:
	s_or_b32 exec_lo, exec_lo, s2
	v_dual_mov_b32 v11, s18 :: v_dual_mov_b32 v12, s19
	v_dual_mov_b32 v9, s16 :: v_dual_mov_b32 v10, s17
	s_mov_b32 s2, exec_lo
	v_cmpx_gt_u32_e64 s24, v80
	s_cbranch_execz .LBB66_9
; %bb.8:
	v_add_co_u32 v9, vcc_lo, 0x2000, v33
	v_add_co_ci_u32_e32 v10, vcc_lo, 0, v34, vcc_lo
	global_load_b128 v[9:12], v[9:10], off
.LBB66_9:
	s_or_b32 exec_lo, exec_lo, s2
	v_dual_mov_b32 v15, s18 :: v_dual_mov_b32 v16, s19
	v_dual_mov_b32 v13, s16 :: v_dual_mov_b32 v14, s17
	s_mov_b32 s2, exec_lo
	v_cmpx_gt_u32_e64 s24, v79
	s_cbranch_execz .LBB66_11
; %bb.10:
	v_add_co_u32 v13, vcc_lo, 0x3000, v33
	v_add_co_ci_u32_e32 v14, vcc_lo, 0, v34, vcc_lo
	global_load_b128 v[13:16], v[13:14], off
.LBB66_11:
	s_or_b32 exec_lo, exec_lo, s2
	v_dual_mov_b32 v20, s19 :: v_dual_mov_b32 v19, s18
	v_dual_mov_b32 v18, s17 :: v_dual_mov_b32 v17, s16
	s_mov_b32 s2, exec_lo
	v_cmpx_gt_u32_e64 s24, v78
	s_cbranch_execz .LBB66_13
; %bb.12:
	v_add_co_u32 v17, vcc_lo, 0x4000, v33
	v_add_co_ci_u32_e32 v18, vcc_lo, 0, v34, vcc_lo
	global_load_b128 v[17:20], v[17:18], off
.LBB66_13:
	s_or_b32 exec_lo, exec_lo, s2
	v_dual_mov_b32 v24, s19 :: v_dual_mov_b32 v23, s18
	v_dual_mov_b32 v22, s17 :: v_dual_mov_b32 v21, s16
	s_mov_b32 s2, exec_lo
	v_cmpx_gt_u32_e64 s24, v77
	s_cbranch_execz .LBB66_15
; %bb.14:
	v_add_co_u32 v21, vcc_lo, 0x5000, v33
	v_add_co_ci_u32_e32 v22, vcc_lo, 0, v34, vcc_lo
	global_load_b128 v[21:24], v[21:22], off
.LBB66_15:
	s_or_b32 exec_lo, exec_lo, s2
	v_dual_mov_b32 v28, s19 :: v_dual_mov_b32 v27, s18
	v_dual_mov_b32 v26, s17 :: v_dual_mov_b32 v25, s16
	s_mov_b32 s2, exec_lo
	v_cmpx_gt_u32_e64 s24, v76
	s_cbranch_execz .LBB66_17
; %bb.16:
	v_add_co_u32 v25, vcc_lo, 0x6000, v33
	v_add_co_ci_u32_e32 v26, vcc_lo, 0, v34, vcc_lo
	global_load_b128 v[25:28], v[25:26], off
.LBB66_17:
	s_or_b32 exec_lo, exec_lo, s2
	v_dual_mov_b32 v32, s19 :: v_dual_mov_b32 v31, s18
	v_dual_mov_b32 v30, s17 :: v_dual_mov_b32 v29, s16
	s_mov_b32 s2, exec_lo
	v_cmpx_gt_u32_e64 s24, v75
	s_cbranch_execz .LBB66_19
; %bb.18:
	v_add_co_u32 v29, vcc_lo, 0x7000, v33
	v_add_co_ci_u32_e32 v30, vcc_lo, 0, v34, vcc_lo
	global_load_b128 v[29:32], v[29:30], off
.LBB66_19:
	s_or_b32 exec_lo, exec_lo, s2
	v_lshrrev_b32_e32 v33, 1, v81
	v_and_b32_e32 v34, 0x70, v35
	v_lshrrev_b32_e32 v35, 1, v80
	v_lshrrev_b32_e32 v36, 1, v79
	;; [unrolled: 1-line block ×3, first 2 shown]
	v_and_b32_e32 v33, 0xf0, v33
	v_add_nc_u32_e32 v34, v34, v82
	v_lshrrev_b32_e32 v38, 1, v77
	v_lshrrev_b32_e32 v39, 1, v76
	v_and_b32_e32 v35, 0x1f0, v35
	v_add_nc_u32_e32 v33, v33, v82
	v_lshrrev_b32_e32 v40, 1, v75
	v_and_b32_e32 v36, 0x1f0, v36
	s_waitcnt vmcnt(0)
	ds_store_b128 v34, v[1:4]
	ds_store_b128 v33, v[5:8] offset:4096
	v_and_b32_e32 v1, 0x3f0, v37
	v_and_b32_e32 v2, 0x3f0, v38
	;; [unrolled: 1-line block ×3, first 2 shown]
	v_add_nc_u32_e32 v35, v35, v82
	v_and_b32_e32 v4, 0x3f0, v40
	v_add_nc_u32_e32 v5, v36, v82
	v_add_nc_u32_e32 v1, v1, v82
	v_add_nc_u32_e32 v2, v2, v82
	v_add_nc_u32_e32 v3, v3, v82
	v_add_nc_u32_e32 v4, v4, v82
	ds_store_b128 v35, v[9:12] offset:8192
	ds_store_b128 v5, v[13:16] offset:12288
	;; [unrolled: 1-line block ×6, first 2 shown]
	s_waitcnt lgkmcnt(0)
	s_barrier
.LBB66_20:
	v_lshlrev_b32_e32 v1, 3, v0
	v_lshrrev_b32_e32 v83, 2, v0
	buffer_gl0_inv
	v_mbcnt_lo_u32_b32 v84, -1, 0
	s_cmp_lg_u32 s15, 0
	v_add_lshl_u32 v29, v83, v1, 4
	ds_load_b128 v[1:4], v29
	ds_load_b128 v[13:16], v29 offset:16
	ds_load_b128 v[9:12], v29 offset:32
	;; [unrolled: 1-line block ×7, first 2 shown]
	s_waitcnt lgkmcnt(0)
	s_barrier
	buffer_gl0_inv
	s_cbranch_scc0 .LBB66_85
; %bb.21:
	v_mul_f64 v[33:34], v[3:4], v[15:16]
	v_mul_f64 v[35:36], v[1:2], v[15:16]
	s_mov_b32 s2, exec_lo
	s_delay_alu instid0(VALU_DEP_2) | instskip(NEXT) | instid1(VALU_DEP_2)
	v_fma_f64 v[33:34], v[1:2], v[13:14], -v[33:34]
	v_fma_f64 v[35:36], v[3:4], v[13:14], v[35:36]
	s_delay_alu instid0(VALU_DEP_2) | instskip(NEXT) | instid1(VALU_DEP_2)
	v_mul_f64 v[37:38], v[33:34], v[11:12]
	v_mul_f64 v[39:40], v[35:36], v[11:12]
	s_delay_alu instid0(VALU_DEP_2) | instskip(NEXT) | instid1(VALU_DEP_2)
	v_fma_f64 v[35:36], v[9:10], v[35:36], v[37:38]
	v_fma_f64 v[33:34], v[9:10], v[33:34], -v[39:40]
	s_delay_alu instid0(VALU_DEP_2) | instskip(NEXT) | instid1(VALU_DEP_2)
	v_mul_f64 v[37:38], v[35:36], v[7:8]
	v_mul_f64 v[39:40], v[33:34], v[7:8]
	s_delay_alu instid0(VALU_DEP_2) | instskip(NEXT) | instid1(VALU_DEP_2)
	v_fma_f64 v[33:34], v[5:6], v[33:34], -v[37:38]
	v_fma_f64 v[35:36], v[5:6], v[35:36], v[39:40]
	s_delay_alu instid0(VALU_DEP_2) | instskip(NEXT) | instid1(VALU_DEP_2)
	v_mul_f64 v[37:38], v[33:34], v[19:20]
	v_mul_f64 v[39:40], v[35:36], v[19:20]
	s_delay_alu instid0(VALU_DEP_2) | instskip(NEXT) | instid1(VALU_DEP_2)
	v_fma_f64 v[35:36], v[17:18], v[35:36], v[37:38]
	v_fma_f64 v[33:34], v[17:18], v[33:34], -v[39:40]
	s_delay_alu instid0(VALU_DEP_2) | instskip(NEXT) | instid1(VALU_DEP_2)
	v_mul_f64 v[37:38], v[35:36], v[23:24]
	v_mul_f64 v[39:40], v[33:34], v[23:24]
	;; [unrolled: 12-line block ×3, first 2 shown]
	s_delay_alu instid0(VALU_DEP_2) | instskip(NEXT) | instid1(VALU_DEP_2)
	v_fma_f64 v[37:38], v[29:30], v[33:34], -v[37:38]
	v_fma_f64 v[39:40], v[29:30], v[35:36], v[39:40]
	v_and_b32_e32 v43, 15, v84
	s_delay_alu instid0(VALU_DEP_3) | instskip(NEXT) | instid1(VALU_DEP_3)
	v_mov_b32_dpp v35, v37 row_shr:1 row_mask:0xf bank_mask:0xf
	v_mov_b32_e32 v34, v40
	v_mov_b32_dpp v36, v38 row_shr:1 row_mask:0xf bank_mask:0xf
	v_mov_b32_dpp v41, v39 row_shr:1 row_mask:0xf bank_mask:0xf
	;; [unrolled: 1-line block ×3, first 2 shown]
	v_mov_b32_e32 v33, v39
	v_cmpx_ne_u32_e32 0, v43
; %bb.22:
	s_delay_alu instid0(VALU_DEP_3) | instskip(SKIP_1) | instid1(VALU_DEP_2)
	v_mul_f64 v[33:34], v[37:38], v[41:42]
	v_mul_f64 v[41:42], v[39:40], v[41:42]
	v_fma_f64 v[33:34], v[39:40], v[35:36], v[33:34]
	s_delay_alu instid0(VALU_DEP_2) | instskip(NEXT) | instid1(VALU_DEP_2)
	v_fma_f64 v[37:38], v[37:38], v[35:36], -v[41:42]
	v_dual_mov_b32 v40, v34 :: v_dual_mov_b32 v39, v33
; %bb.23:
	s_or_b32 exec_lo, exec_lo, s2
	s_delay_alu instid0(VALU_DEP_2) | instskip(NEXT) | instid1(VALU_DEP_3)
	v_mov_b32_dpp v35, v37 row_shr:2 row_mask:0xf bank_mask:0xf
	v_mov_b32_dpp v36, v38 row_shr:2 row_mask:0xf bank_mask:0xf
	v_mov_b32_dpp v41, v33 row_shr:2 row_mask:0xf bank_mask:0xf
	v_mov_b32_dpp v42, v34 row_shr:2 row_mask:0xf bank_mask:0xf
	s_mov_b32 s2, exec_lo
	v_cmpx_lt_u32_e32 1, v43
; %bb.24:
	s_delay_alu instid0(VALU_DEP_2) | instskip(SKIP_1) | instid1(VALU_DEP_2)
	v_mul_f64 v[33:34], v[37:38], v[41:42]
	v_mul_f64 v[41:42], v[39:40], v[41:42]
	v_fma_f64 v[33:34], v[39:40], v[35:36], v[33:34]
	s_delay_alu instid0(VALU_DEP_2) | instskip(NEXT) | instid1(VALU_DEP_2)
	v_fma_f64 v[37:38], v[37:38], v[35:36], -v[41:42]
	v_dual_mov_b32 v40, v34 :: v_dual_mov_b32 v39, v33
; %bb.25:
	s_or_b32 exec_lo, exec_lo, s2
	s_delay_alu instid0(VALU_DEP_2) | instskip(NEXT) | instid1(VALU_DEP_3)
	v_mov_b32_dpp v35, v37 row_shr:4 row_mask:0xf bank_mask:0xf
	v_mov_b32_dpp v36, v38 row_shr:4 row_mask:0xf bank_mask:0xf
	v_mov_b32_dpp v41, v33 row_shr:4 row_mask:0xf bank_mask:0xf
	v_mov_b32_dpp v42, v34 row_shr:4 row_mask:0xf bank_mask:0xf
	s_mov_b32 s2, exec_lo
	v_cmpx_lt_u32_e32 3, v43
; %bb.26:
	s_delay_alu instid0(VALU_DEP_2) | instskip(SKIP_1) | instid1(VALU_DEP_2)
	;; [unrolled: 17-line block ×3, first 2 shown]
	v_mul_f64 v[33:34], v[37:38], v[41:42]
	v_mul_f64 v[41:42], v[39:40], v[41:42]
	v_fma_f64 v[33:34], v[39:40], v[35:36], v[33:34]
	s_delay_alu instid0(VALU_DEP_2) | instskip(NEXT) | instid1(VALU_DEP_2)
	v_fma_f64 v[37:38], v[37:38], v[35:36], -v[41:42]
	v_dual_mov_b32 v40, v34 :: v_dual_mov_b32 v39, v33
; %bb.29:
	s_or_b32 exec_lo, exec_lo, s2
	ds_swizzle_b32 v35, v37 offset:swizzle(BROADCAST,32,15)
	ds_swizzle_b32 v36, v38 offset:swizzle(BROADCAST,32,15)
	;; [unrolled: 1-line block ×4, first 2 shown]
	v_and_b32_e32 v41, 16, v84
	s_mov_b32 s2, exec_lo
	s_delay_alu instid0(VALU_DEP_1)
	v_cmpx_ne_u32_e32 0, v41
	s_cbranch_execz .LBB66_31
; %bb.30:
	s_waitcnt lgkmcnt(0)
	v_mul_f64 v[41:42], v[37:38], v[33:34]
	v_mul_f64 v[33:34], v[39:40], v[33:34]
	s_delay_alu instid0(VALU_DEP_2) | instskip(NEXT) | instid1(VALU_DEP_2)
	v_fma_f64 v[39:40], v[39:40], v[35:36], v[41:42]
	v_fma_f64 v[37:38], v[37:38], v[35:36], -v[33:34]
.LBB66_31:
	s_or_b32 exec_lo, exec_lo, s2
	s_waitcnt lgkmcnt(1)
	v_or_b32_e32 v33, 31, v0
	v_lshrrev_b32_e32 v47, 5, v0
	s_mov_b32 s2, exec_lo
	s_delay_alu instid0(VALU_DEP_2)
	v_cmpx_eq_u32_e64 v33, v0
	s_cbranch_execz .LBB66_33
; %bb.32:
	s_delay_alu instid0(VALU_DEP_2)
	v_lshlrev_b32_e32 v33, 4, v47
	ds_store_b128 v33, v[37:40]
.LBB66_33:
	s_or_b32 exec_lo, exec_lo, s2
	s_delay_alu instid0(SALU_CYCLE_1)
	s_mov_b32 s2, exec_lo
	s_waitcnt lgkmcnt(0)
	s_barrier
	buffer_gl0_inv
	v_cmpx_gt_u32_e32 8, v0
	s_cbranch_execz .LBB66_41
; %bb.34:
	ds_load_b128 v[33:36], v82
	v_and_b32_e32 v48, 7, v84
	s_mov_b32 s3, exec_lo
	s_waitcnt lgkmcnt(0)
	v_mov_b32_e32 v41, v35
	v_mov_b32_dpp v43, v33 row_shr:1 row_mask:0xf bank_mask:0xf
	v_mov_b32_dpp v44, v34 row_shr:1 row_mask:0xf bank_mask:0xf
	;; [unrolled: 1-line block ×4, first 2 shown]
	v_mov_b32_e32 v42, v36
	v_cmpx_ne_u32_e32 0, v48
; %bb.35:
	s_delay_alu instid0(VALU_DEP_3) | instskip(SKIP_1) | instid1(VALU_DEP_2)
	v_mul_f64 v[41:42], v[33:34], v[45:46]
	v_mul_f64 v[45:46], v[35:36], v[45:46]
	v_fma_f64 v[41:42], v[35:36], v[43:44], v[41:42]
	s_delay_alu instid0(VALU_DEP_2) | instskip(NEXT) | instid1(VALU_DEP_2)
	v_fma_f64 v[33:34], v[33:34], v[43:44], -v[45:46]
	v_dual_mov_b32 v35, v41 :: v_dual_mov_b32 v36, v42
; %bb.36:
	s_or_b32 exec_lo, exec_lo, s3
	s_delay_alu instid0(VALU_DEP_2) | instskip(NEXT) | instid1(VALU_DEP_3)
	v_mov_b32_dpp v43, v33 row_shr:2 row_mask:0xf bank_mask:0xf
	v_mov_b32_dpp v44, v34 row_shr:2 row_mask:0xf bank_mask:0xf
	;; [unrolled: 1-line block ×4, first 2 shown]
	s_mov_b32 s3, exec_lo
	v_cmpx_lt_u32_e32 1, v48
; %bb.37:
	s_delay_alu instid0(VALU_DEP_2) | instskip(SKIP_1) | instid1(VALU_DEP_2)
	v_mul_f64 v[41:42], v[33:34], v[45:46]
	v_mul_f64 v[45:46], v[35:36], v[45:46]
	v_fma_f64 v[41:42], v[35:36], v[43:44], v[41:42]
	s_delay_alu instid0(VALU_DEP_2) | instskip(NEXT) | instid1(VALU_DEP_2)
	v_fma_f64 v[33:34], v[33:34], v[43:44], -v[45:46]
	v_dual_mov_b32 v35, v41 :: v_dual_mov_b32 v36, v42
; %bb.38:
	s_or_b32 exec_lo, exec_lo, s3
	s_delay_alu instid0(VALU_DEP_2) | instskip(NEXT) | instid1(VALU_DEP_3)
	v_mov_b32_dpp v43, v33 row_shr:4 row_mask:0xf bank_mask:0xf
	v_mov_b32_dpp v44, v34 row_shr:4 row_mask:0xf bank_mask:0xf
	;; [unrolled: 1-line block ×4, first 2 shown]
	s_mov_b32 s3, exec_lo
	v_cmpx_lt_u32_e32 3, v48
; %bb.39:
	s_delay_alu instid0(VALU_DEP_2) | instskip(SKIP_1) | instid1(VALU_DEP_2)
	v_mul_f64 v[45:46], v[33:34], v[41:42]
	v_mul_f64 v[41:42], v[35:36], v[41:42]
	v_fma_f64 v[35:36], v[35:36], v[43:44], v[45:46]
	s_delay_alu instid0(VALU_DEP_2)
	v_fma_f64 v[33:34], v[33:34], v[43:44], -v[41:42]
; %bb.40:
	s_or_b32 exec_lo, exec_lo, s3
	ds_store_b128 v82, v[33:36]
.LBB66_41:
	s_or_b32 exec_lo, exec_lo, s2
	v_mov_b32_e32 v35, 0
	v_mov_b32_e32 v36, 0
	v_cmp_gt_u32_e32 vcc_lo, 32, v0
	s_delay_alu instid0(VALU_DEP_3)
	v_mov_b32_e32 v33, v35
	s_mov_b32 s3, exec_lo
	s_waitcnt lgkmcnt(0)
	v_mov_b32_e32 v34, v36
	s_barrier
	buffer_gl0_inv
	v_cmpx_lt_u32_e32 31, v0
	s_cbranch_execz .LBB66_43
; %bb.42:
	v_lshl_add_u32 v33, v47, 4, -16
	ds_load_b128 v[33:36], v33
	s_waitcnt lgkmcnt(0)
	v_mul_f64 v[41:42], v[39:40], v[35:36]
	v_mul_f64 v[43:44], v[37:38], v[35:36]
	s_delay_alu instid0(VALU_DEP_2) | instskip(NEXT) | instid1(VALU_DEP_2)
	v_fma_f64 v[37:38], v[37:38], v[33:34], -v[41:42]
	v_fma_f64 v[39:40], v[39:40], v[33:34], v[43:44]
.LBB66_43:
	s_or_b32 exec_lo, exec_lo, s3
	v_add_nc_u32_e32 v41, -1, v84
	s_delay_alu instid0(VALU_DEP_1) | instskip(NEXT) | instid1(VALU_DEP_1)
	v_cmp_gt_i32_e64 s2, 0, v41
	v_cndmask_b32_e64 v41, v41, v84, s2
	v_cmp_eq_u32_e64 s2, 0, v84
	s_delay_alu instid0(VALU_DEP_2)
	v_lshlrev_b32_e32 v41, 2, v41
	ds_bpermute_b32 v57, v41, v37
	ds_bpermute_b32 v58, v41, v38
	;; [unrolled: 1-line block ×4, first 2 shown]
	s_and_saveexec_b32 s3, vcc_lo
	s_cbranch_execz .LBB66_82
; %bb.44:
	v_mov_b32_e32 v42, 0
	ds_load_b128 v[37:40], v42 offset:112
	s_and_saveexec_b32 s4, s2
	s_cbranch_execz .LBB66_46
; %bb.45:
	s_add_i32 s12, s15, 32
	v_mov_b32_e32 v43, 1
	s_lshl_b64 s[16:17], s[12:13], 4
	v_mov_b32_e32 v41, s12
	s_add_u32 s12, s8, s16
	s_addc_u32 s13, s9, s17
	s_waitcnt lgkmcnt(0)
	global_store_b128 v42, v[37:40], s[12:13]
	s_waitcnt_vscnt null, 0x0
	buffer_gl1_inv
	buffer_gl0_inv
	global_store_b8 v41, v43, s[22:23]
.LBB66_46:
	s_or_b32 exec_lo, exec_lo, s4
	v_xad_u32 v49, v84, -1, s15
	s_mov_b32 s5, 0
	s_mov_b32 s4, exec_lo
	s_delay_alu instid0(VALU_DEP_1)
	v_add_nc_u32_e32 v41, 32, v49
	global_load_u8 v61, v41, s[22:23] glc
	s_waitcnt vmcnt(0)
	v_cmpx_eq_u16_e32 0, v61
	s_cbranch_execz .LBB66_50
; %bb.47:
	v_add_co_u32 v43, s12, s22, v41
	s_delay_alu instid0(VALU_DEP_1)
	v_add_co_ci_u32_e64 v44, null, s23, 0, s12
.LBB66_48:                              ; =>This Inner Loop Header: Depth=1
	global_load_u8 v61, v[43:44], off glc
	s_waitcnt vmcnt(0)
	v_cmp_ne_u16_e32 vcc_lo, 0, v61
	s_or_b32 s5, vcc_lo, s5
	s_delay_alu instid0(SALU_CYCLE_1)
	s_and_not1_b32 exec_lo, exec_lo, s5
	s_cbranch_execnz .LBB66_48
; %bb.49:
	s_or_b32 exec_lo, exec_lo, s5
.LBB66_50:
	s_delay_alu instid0(SALU_CYCLE_1)
	s_or_b32 exec_lo, exec_lo, s4
	v_dual_mov_b32 v43, s9 :: v_dual_mov_b32 v44, s8
	v_cmp_eq_u16_e32 vcc_lo, 1, v61
	v_lshlrev_b64 v[41:42], 4, v[41:42]
	s_waitcnt lgkmcnt(0)
	s_waitcnt_vscnt null, 0x0
	buffer_gl1_inv
	buffer_gl0_inv
	v_lshlrev_b32_e64 v63, v84, -1
	v_add_nc_u32_e32 v64, 1, v84
	v_cndmask_b32_e32 v44, s10, v44, vcc_lo
	v_cndmask_b32_e32 v43, s11, v43, vcc_lo
	s_mov_b32 s4, exec_lo
	s_delay_alu instid0(VALU_DEP_2) | instskip(NEXT) | instid1(VALU_DEP_2)
	v_add_co_u32 v41, vcc_lo, v44, v41
	v_add_co_ci_u32_e32 v42, vcc_lo, v43, v42, vcc_lo
	v_cmp_ne_u32_e32 vcc_lo, 31, v84
	global_load_b128 v[45:48], v[41:42], off
	v_add_co_ci_u32_e32 v41, vcc_lo, 0, v84, vcc_lo
	v_cmp_eq_u16_e32 vcc_lo, 2, v61
	s_delay_alu instid0(VALU_DEP_2) | instskip(SKIP_1) | instid1(VALU_DEP_1)
	v_lshlrev_b32_e32 v62, 2, v41
	v_and_or_b32 v41, vcc_lo, v63, 0x80000000
	v_ctz_i32_b32_e32 v52, v41
	s_waitcnt vmcnt(0)
	ds_bpermute_b32 v43, v62, v45
	ds_bpermute_b32 v44, v62, v46
	;; [unrolled: 1-line block ×4, first 2 shown]
	v_dual_mov_b32 v42, v46 :: v_dual_mov_b32 v41, v45
	v_cmpx_le_u32_e64 v64, v52
	s_cbranch_execz .LBB66_52
; %bb.51:
	s_waitcnt lgkmcnt(0)
	v_mul_f64 v[41:42], v[47:48], v[50:51]
	v_mul_f64 v[50:51], v[45:46], v[50:51]
	s_delay_alu instid0(VALU_DEP_2) | instskip(NEXT) | instid1(VALU_DEP_2)
	v_fma_f64 v[41:42], v[45:46], v[43:44], -v[41:42]
	v_fma_f64 v[47:48], v[47:48], v[43:44], v[50:51]
	s_delay_alu instid0(VALU_DEP_2)
	v_dual_mov_b32 v46, v42 :: v_dual_mov_b32 v45, v41
.LBB66_52:
	s_or_b32 exec_lo, exec_lo, s4
	v_cmp_gt_u32_e32 vcc_lo, 30, v84
	v_add_nc_u32_e32 v66, 2, v84
	s_mov_b32 s4, exec_lo
	s_waitcnt lgkmcnt(3)
	v_cndmask_b32_e64 v43, 0, 1, vcc_lo
	s_delay_alu instid0(VALU_DEP_1) | instskip(NEXT) | instid1(VALU_DEP_1)
	v_lshlrev_b32_e32 v43, 1, v43
	v_add_lshl_u32 v65, v43, v84, 2
	ds_bpermute_b32 v43, v65, v41
	s_waitcnt lgkmcnt(3)
	ds_bpermute_b32 v44, v65, v42
	s_waitcnt lgkmcnt(3)
	ds_bpermute_b32 v50, v65, v47
	s_waitcnt lgkmcnt(3)
	ds_bpermute_b32 v51, v65, v48
	v_cmpx_le_u32_e64 v66, v52
	s_cbranch_execz .LBB66_54
; %bb.53:
	s_waitcnt lgkmcnt(0)
	v_mul_f64 v[41:42], v[47:48], v[50:51]
	v_mul_f64 v[50:51], v[45:46], v[50:51]
	s_delay_alu instid0(VALU_DEP_2) | instskip(NEXT) | instid1(VALU_DEP_2)
	v_fma_f64 v[41:42], v[45:46], v[43:44], -v[41:42]
	v_fma_f64 v[47:48], v[47:48], v[43:44], v[50:51]
	s_delay_alu instid0(VALU_DEP_2)
	v_dual_mov_b32 v46, v42 :: v_dual_mov_b32 v45, v41
.LBB66_54:
	s_or_b32 exec_lo, exec_lo, s4
	v_cmp_gt_u32_e32 vcc_lo, 28, v84
	v_add_nc_u32_e32 v68, 4, v84
	s_mov_b32 s4, exec_lo
	s_waitcnt lgkmcnt(3)
	v_cndmask_b32_e64 v43, 0, 1, vcc_lo
	s_delay_alu instid0(VALU_DEP_1) | instskip(NEXT) | instid1(VALU_DEP_1)
	v_lshlrev_b32_e32 v43, 2, v43
	v_add_lshl_u32 v67, v43, v84, 2
	ds_bpermute_b32 v43, v67, v41
	s_waitcnt lgkmcnt(3)
	ds_bpermute_b32 v44, v67, v42
	s_waitcnt lgkmcnt(3)
	ds_bpermute_b32 v50, v67, v47
	s_waitcnt lgkmcnt(3)
	ds_bpermute_b32 v51, v67, v48
	;; [unrolled: 28-line block ×3, first 2 shown]
	v_cmpx_le_u32_e64 v70, v52
	s_cbranch_execz .LBB66_58
; %bb.57:
	s_waitcnt lgkmcnt(0)
	v_mul_f64 v[41:42], v[47:48], v[50:51]
	v_mul_f64 v[50:51], v[45:46], v[50:51]
	s_delay_alu instid0(VALU_DEP_2) | instskip(NEXT) | instid1(VALU_DEP_2)
	v_fma_f64 v[41:42], v[45:46], v[43:44], -v[41:42]
	v_fma_f64 v[47:48], v[47:48], v[43:44], v[50:51]
	s_delay_alu instid0(VALU_DEP_2)
	v_dual_mov_b32 v46, v42 :: v_dual_mov_b32 v45, v41
.LBB66_58:
	s_or_b32 exec_lo, exec_lo, s4
	v_cmp_gt_u32_e32 vcc_lo, 16, v84
	v_add_nc_u32_e32 v72, 16, v84
	s_mov_b32 s4, exec_lo
	s_waitcnt lgkmcnt(3)
	v_cndmask_b32_e64 v43, 0, 1, vcc_lo
	s_delay_alu instid0(VALU_DEP_1) | instskip(NEXT) | instid1(VALU_DEP_1)
	v_lshlrev_b32_e32 v43, 4, v43
	v_add_lshl_u32 v71, v43, v84, 2
	ds_bpermute_b32 v41, v71, v41
	ds_bpermute_b32 v42, v71, v42
	;; [unrolled: 1-line block ×3, first 2 shown]
	s_waitcnt lgkmcnt(5)
	ds_bpermute_b32 v44, v71, v48
	v_cmpx_le_u32_e64 v72, v52
	s_cbranch_execz .LBB66_60
; %bb.59:
	s_waitcnt lgkmcnt(0)
	v_mul_f64 v[50:51], v[47:48], v[43:44]
	v_mul_f64 v[43:44], v[45:46], v[43:44]
	s_delay_alu instid0(VALU_DEP_2) | instskip(NEXT) | instid1(VALU_DEP_2)
	v_fma_f64 v[45:46], v[45:46], v[41:42], -v[50:51]
	v_fma_f64 v[47:48], v[47:48], v[41:42], v[43:44]
.LBB66_60:
	s_or_b32 exec_lo, exec_lo, s4
	s_waitcnt lgkmcnt(5)
	v_mov_b32_e32 v50, 0
	s_branch .LBB66_62
.LBB66_61:                              ;   in Loop: Header=BB66_62 Depth=1
	s_or_b32 exec_lo, exec_lo, s4
	s_waitcnt lgkmcnt(2)
	s_delay_alu instid0(VALU_DEP_1) | instskip(SKIP_1) | instid1(VALU_DEP_3)
	v_mul_f64 v[51:52], v[43:44], v[47:48]
	s_waitcnt lgkmcnt(0)
	v_mul_f64 v[53:54], v[43:44], v[45:46]
	v_subrev_nc_u32_e32 v49, 32, v49
	s_delay_alu instid0(VALU_DEP_3) | instskip(NEXT) | instid1(VALU_DEP_3)
	v_fma_f64 v[45:46], v[41:42], v[45:46], -v[51:52]
	v_fma_f64 v[47:48], v[41:42], v[47:48], v[53:54]
.LBB66_62:                              ; =>This Loop Header: Depth=1
                                        ;     Child Loop BB66_65 Depth 2
	s_waitcnt lgkmcnt(3)
	v_and_b32_e32 v41, 0xff, v61
	s_waitcnt lgkmcnt(0)
	s_delay_alu instid0(VALU_DEP_2) | instskip(NEXT) | instid1(VALU_DEP_2)
	v_dual_mov_b32 v43, v47 :: v_dual_mov_b32 v44, v48
	v_cmp_ne_u16_e32 vcc_lo, 2, v41
	v_cndmask_b32_e64 v41, 0, 1, vcc_lo
	;;#ASMSTART
	;;#ASMEND
	s_delay_alu instid0(VALU_DEP_1)
	v_cmp_ne_u32_e32 vcc_lo, 0, v41
	v_dual_mov_b32 v41, v45 :: v_dual_mov_b32 v42, v46
	s_cmp_lg_u32 vcc_lo, exec_lo
	s_cbranch_scc1 .LBB66_77
; %bb.63:                               ;   in Loop: Header=BB66_62 Depth=1
	global_load_u8 v61, v49, s[22:23] glc
	s_mov_b32 s4, exec_lo
	s_waitcnt vmcnt(0)
	v_cmpx_eq_u16_e32 0, v61
	s_cbranch_execz .LBB66_67
; %bb.64:                               ;   in Loop: Header=BB66_62 Depth=1
	v_add_co_u32 v45, s5, s22, v49
	s_delay_alu instid0(VALU_DEP_1)
	v_add_co_ci_u32_e64 v46, null, s23, 0, s5
	s_mov_b32 s5, 0
.LBB66_65:                              ;   Parent Loop BB66_62 Depth=1
                                        ; =>  This Inner Loop Header: Depth=2
	global_load_u8 v61, v[45:46], off glc
	s_waitcnt vmcnt(0)
	v_cmp_ne_u16_e32 vcc_lo, 0, v61
	s_or_b32 s5, vcc_lo, s5
	s_delay_alu instid0(SALU_CYCLE_1)
	s_and_not1_b32 exec_lo, exec_lo, s5
	s_cbranch_execnz .LBB66_65
; %bb.66:                               ;   in Loop: Header=BB66_62 Depth=1
	s_or_b32 exec_lo, exec_lo, s5
.LBB66_67:                              ;   in Loop: Header=BB66_62 Depth=1
	s_delay_alu instid0(SALU_CYCLE_1)
	s_or_b32 exec_lo, exec_lo, s4
	v_dual_mov_b32 v47, s9 :: v_dual_mov_b32 v48, s8
	v_cmp_eq_u16_e32 vcc_lo, 1, v61
	v_lshlrev_b64 v[45:46], 4, v[49:50]
	buffer_gl1_inv
	buffer_gl0_inv
	s_mov_b32 s4, exec_lo
	v_cndmask_b32_e32 v48, s10, v48, vcc_lo
	v_cndmask_b32_e32 v47, s11, v47, vcc_lo
	s_delay_alu instid0(VALU_DEP_2) | instskip(NEXT) | instid1(VALU_DEP_2)
	v_add_co_u32 v45, vcc_lo, v48, v45
	v_add_co_ci_u32_e32 v46, vcc_lo, v47, v46, vcc_lo
	v_cmp_eq_u16_e32 vcc_lo, 2, v61
	global_load_b128 v[45:48], v[45:46], off
	v_and_or_b32 v51, vcc_lo, v63, 0x80000000
	s_delay_alu instid0(VALU_DEP_1)
	v_ctz_i32_b32_e32 v73, v51
	s_waitcnt vmcnt(0)
	v_mov_b32_e32 v52, v46
	ds_bpermute_b32 v53, v62, v45
	ds_bpermute_b32 v54, v62, v46
	;; [unrolled: 1-line block ×4, first 2 shown]
	v_mov_b32_e32 v51, v45
	v_cmpx_le_u32_e64 v64, v73
	s_cbranch_execz .LBB66_69
; %bb.68:                               ;   in Loop: Header=BB66_62 Depth=1
	s_waitcnt lgkmcnt(0)
	v_mul_f64 v[51:52], v[47:48], v[55:56]
	v_mul_f64 v[55:56], v[45:46], v[55:56]
	s_delay_alu instid0(VALU_DEP_2) | instskip(NEXT) | instid1(VALU_DEP_2)
	v_fma_f64 v[51:52], v[45:46], v[53:54], -v[51:52]
	v_fma_f64 v[47:48], v[47:48], v[53:54], v[55:56]
	s_delay_alu instid0(VALU_DEP_2)
	v_dual_mov_b32 v45, v51 :: v_dual_mov_b32 v46, v52
.LBB66_69:                              ;   in Loop: Header=BB66_62 Depth=1
	s_or_b32 exec_lo, exec_lo, s4
	s_waitcnt lgkmcnt(3)
	ds_bpermute_b32 v53, v65, v51
	s_waitcnt lgkmcnt(3)
	ds_bpermute_b32 v54, v65, v52
	s_waitcnt lgkmcnt(3)
	ds_bpermute_b32 v55, v65, v47
	s_waitcnt lgkmcnt(3)
	ds_bpermute_b32 v56, v65, v48
	s_mov_b32 s4, exec_lo
	v_cmpx_le_u32_e64 v66, v73
	s_cbranch_execz .LBB66_71
; %bb.70:                               ;   in Loop: Header=BB66_62 Depth=1
	s_waitcnt lgkmcnt(0)
	v_mul_f64 v[51:52], v[47:48], v[55:56]
	v_mul_f64 v[55:56], v[45:46], v[55:56]
	s_delay_alu instid0(VALU_DEP_2) | instskip(NEXT) | instid1(VALU_DEP_2)
	v_fma_f64 v[51:52], v[45:46], v[53:54], -v[51:52]
	v_fma_f64 v[47:48], v[47:48], v[53:54], v[55:56]
	s_delay_alu instid0(VALU_DEP_2)
	v_dual_mov_b32 v45, v51 :: v_dual_mov_b32 v46, v52
.LBB66_71:                              ;   in Loop: Header=BB66_62 Depth=1
	s_or_b32 exec_lo, exec_lo, s4
	s_waitcnt lgkmcnt(3)
	ds_bpermute_b32 v53, v67, v51
	s_waitcnt lgkmcnt(3)
	ds_bpermute_b32 v54, v67, v52
	s_waitcnt lgkmcnt(3)
	ds_bpermute_b32 v55, v67, v47
	s_waitcnt lgkmcnt(3)
	ds_bpermute_b32 v56, v67, v48
	s_mov_b32 s4, exec_lo
	;; [unrolled: 22-line block ×3, first 2 shown]
	v_cmpx_le_u32_e64 v70, v73
	s_cbranch_execz .LBB66_75
; %bb.74:                               ;   in Loop: Header=BB66_62 Depth=1
	s_waitcnt lgkmcnt(0)
	v_mul_f64 v[51:52], v[47:48], v[55:56]
	v_mul_f64 v[55:56], v[45:46], v[55:56]
	s_delay_alu instid0(VALU_DEP_2) | instskip(NEXT) | instid1(VALU_DEP_2)
	v_fma_f64 v[51:52], v[45:46], v[53:54], -v[51:52]
	v_fma_f64 v[47:48], v[47:48], v[53:54], v[55:56]
	s_delay_alu instid0(VALU_DEP_2)
	v_dual_mov_b32 v45, v51 :: v_dual_mov_b32 v46, v52
.LBB66_75:                              ;   in Loop: Header=BB66_62 Depth=1
	s_or_b32 exec_lo, exec_lo, s4
	ds_bpermute_b32 v51, v71, v51
	ds_bpermute_b32 v52, v71, v52
	s_waitcnt lgkmcnt(5)
	ds_bpermute_b32 v53, v71, v47
	s_waitcnt lgkmcnt(5)
	ds_bpermute_b32 v54, v71, v48
	s_mov_b32 s4, exec_lo
	v_cmpx_le_u32_e64 v72, v73
	s_cbranch_execz .LBB66_61
; %bb.76:                               ;   in Loop: Header=BB66_62 Depth=1
	s_waitcnt lgkmcnt(0)
	v_mul_f64 v[55:56], v[47:48], v[53:54]
	v_mul_f64 v[53:54], v[45:46], v[53:54]
	s_delay_alu instid0(VALU_DEP_2) | instskip(NEXT) | instid1(VALU_DEP_2)
	v_fma_f64 v[45:46], v[45:46], v[51:52], -v[55:56]
	v_fma_f64 v[47:48], v[47:48], v[51:52], v[53:54]
	s_branch .LBB66_61
.LBB66_77:                              ;   in Loop: Header=BB66_62 Depth=1
                                        ; implicit-def: $vgpr61
                                        ; implicit-def: $vgpr45_vgpr46
	s_cbranch_execz .LBB66_62
; %bb.78:
	s_and_saveexec_b32 s4, s2
	s_cbranch_execz .LBB66_80
; %bb.79:
	v_mul_f64 v[45:46], v[39:40], v[43:44]
	v_mul_f64 v[39:40], v[39:40], v[41:42]
	s_add_i32 s8, s15, 32
	s_mov_b32 s9, 0
	s_delay_alu instid0(SALU_CYCLE_1) | instskip(NEXT) | instid1(VALU_DEP_2)
	s_lshl_b64 s[12:13], s[8:9], 4
	v_fma_f64 v[45:46], v[37:38], v[41:42], -v[45:46]
	s_delay_alu instid0(VALU_DEP_2)
	v_fma_f64 v[47:48], v[37:38], v[43:44], v[39:40]
	v_dual_mov_b32 v37, 0 :: v_dual_mov_b32 v38, 2
	v_mov_b32_e32 v39, s8
	s_add_u32 s8, s10, s12
	s_addc_u32 s9, s11, s13
	global_store_b128 v37, v[45:48], s[8:9]
	s_waitcnt_vscnt null, 0x0
	buffer_gl1_inv
	buffer_gl0_inv
	global_store_b8 v39, v38, s[22:23]
.LBB66_80:
	s_or_b32 exec_lo, exec_lo, s4
	v_cmp_eq_u32_e32 vcc_lo, 0, v0
	s_and_b32 exec_lo, exec_lo, vcc_lo
	s_cbranch_execz .LBB66_82
; %bb.81:
	v_mov_b32_e32 v37, 0
	ds_store_b128 v37, v[41:44] offset:112
.LBB66_82:
	s_or_b32 exec_lo, exec_lo, s3
	v_dual_mov_b32 v37, 0 :: v_dual_mov_b32 v44, v4
	s_waitcnt lgkmcnt(0)
	s_waitcnt_vscnt null, 0x0
	s_barrier
	buffer_gl0_inv
	ds_load_b128 v[37:40], v37 offset:112
	v_dual_mov_b32 v43, v3 :: v_dual_mov_b32 v42, v2
	v_mov_b32_e32 v41, v1
	s_mov_b32 s3, 0
	s_mov_b32 s4, exec_lo
	v_cmpx_ne_u32_e32 0, v0
; %bb.83:
	v_cndmask_b32_e64 v36, v60, v36, s2
	v_cndmask_b32_e64 v35, v59, v35, s2
	;; [unrolled: 1-line block ×4, first 2 shown]
	s_delay_alu instid0(VALU_DEP_3) | instskip(SKIP_1) | instid1(VALU_DEP_2)
	v_mul_f64 v[41:42], v[3:4], v[35:36]
	v_mul_f64 v[35:36], v[1:2], v[35:36]
	v_fma_f64 v[41:42], v[1:2], v[33:34], -v[41:42]
	s_delay_alu instid0(VALU_DEP_2)
	v_fma_f64 v[43:44], v[3:4], v[33:34], v[35:36]
; %bb.84:
	s_or_b32 exec_lo, exec_lo, s4
	s_waitcnt lgkmcnt(0)
	s_delay_alu instid0(VALU_DEP_2) | instskip(NEXT) | instid1(VALU_DEP_2)
	v_mul_f64 v[33:34], v[39:40], v[41:42]
	v_mul_f64 v[35:36], v[39:40], v[43:44]
	s_delay_alu instid0(VALU_DEP_2) | instskip(NEXT) | instid1(VALU_DEP_2)
	v_fma_f64 v[63:64], v[37:38], v[43:44], v[33:34]
	v_fma_f64 v[61:62], v[37:38], v[41:42], -v[35:36]
	s_delay_alu instid0(VALU_DEP_2) | instskip(NEXT) | instid1(VALU_DEP_2)
	v_mul_f64 v[33:34], v[15:16], v[63:64]
	v_mul_f64 v[35:36], v[15:16], v[61:62]
	s_delay_alu instid0(VALU_DEP_2) | instskip(NEXT) | instid1(VALU_DEP_2)
	v_fma_f64 v[33:34], v[13:14], v[61:62], -v[33:34]
	v_fma_f64 v[35:36], v[13:14], v[63:64], v[35:36]
	s_delay_alu instid0(VALU_DEP_2) | instskip(NEXT) | instid1(VALU_DEP_2)
	v_mul_f64 v[37:38], v[11:12], v[33:34]
	v_mul_f64 v[41:42], v[11:12], v[35:36]
	s_delay_alu instid0(VALU_DEP_2) | instskip(NEXT) | instid1(VALU_DEP_2)
	v_fma_f64 v[39:40], v[9:10], v[35:36], v[37:38]
	v_fma_f64 v[37:38], v[9:10], v[33:34], -v[41:42]
	s_delay_alu instid0(VALU_DEP_2) | instskip(NEXT) | instid1(VALU_DEP_2)
	v_mul_f64 v[41:42], v[7:8], v[39:40]
	v_mul_f64 v[43:44], v[7:8], v[37:38]
	s_delay_alu instid0(VALU_DEP_2) | instskip(NEXT) | instid1(VALU_DEP_2)
	v_fma_f64 v[41:42], v[5:6], v[37:38], -v[41:42]
	v_fma_f64 v[43:44], v[5:6], v[39:40], v[43:44]
	;; [unrolled: 12-line block ×4, first 2 shown]
	s_load_b128 s[12:15], s[0:1], 0x58
	s_and_b32 vcc_lo, exec_lo, s3
	s_cbranch_vccnz .LBB66_86
	s_branch .LBB66_115
.LBB66_85:
                                        ; implicit-def: $vgpr61_vgpr62
                                        ; implicit-def: $vgpr33_vgpr34
                                        ; implicit-def: $vgpr37_vgpr38
                                        ; implicit-def: $vgpr41_vgpr42
                                        ; implicit-def: $vgpr45_vgpr46
                                        ; implicit-def: $vgpr53_vgpr54
                                        ; implicit-def: $vgpr49_vgpr50
                                        ; implicit-def: $vgpr57_vgpr58
	s_load_b128 s[12:15], s[0:1], 0x58
	s_cbranch_execz .LBB66_115
.LBB66_86:
	s_load_b32 s2, s[0:1], 0x68
	v_cmp_eq_u32_e32 vcc_lo, 0, v0
	s_waitcnt lgkmcnt(0)
	s_bitcmp1_b32 s2, 0
	v_cmp_ne_u32_e64 s2, 0, v0
	s_cselect_b32 s3, -1, 0
	s_delay_alu instid0(SALU_CYCLE_1) | instskip(NEXT) | instid1(SALU_CYCLE_1)
	s_and_b32 s4, vcc_lo, s3
	s_and_saveexec_b32 s3, s4
	s_cbranch_execz .LBB66_88
; %bb.87:
	v_mov_b32_e32 v33, 0
	global_load_b128 v[33:36], v33, s[12:13]
	s_waitcnt vmcnt(0)
	v_mul_f64 v[37:38], v[3:4], v[35:36]
	v_mul_f64 v[35:36], v[1:2], v[35:36]
	s_delay_alu instid0(VALU_DEP_2) | instskip(NEXT) | instid1(VALU_DEP_2)
	v_fma_f64 v[1:2], v[1:2], v[33:34], -v[37:38]
	v_fma_f64 v[3:4], v[3:4], v[33:34], v[35:36]
.LBB66_88:
	s_or_b32 exec_lo, exec_lo, s3
	s_delay_alu instid0(VALU_DEP_1) | instskip(NEXT) | instid1(VALU_DEP_3)
	v_mul_f64 v[33:34], v[15:16], v[3:4]
	v_mul_f64 v[35:36], v[15:16], v[1:2]
	s_mov_b32 s4, exec_lo
	s_delay_alu instid0(VALU_DEP_2) | instskip(NEXT) | instid1(VALU_DEP_2)
	v_fma_f64 v[33:34], v[13:14], v[1:2], -v[33:34]
	v_fma_f64 v[35:36], v[13:14], v[3:4], v[35:36]
	s_delay_alu instid0(VALU_DEP_2) | instskip(NEXT) | instid1(VALU_DEP_2)
	v_mul_f64 v[37:38], v[11:12], v[33:34]
	v_mul_f64 v[41:42], v[11:12], v[35:36]
	s_delay_alu instid0(VALU_DEP_2) | instskip(NEXT) | instid1(VALU_DEP_2)
	v_fma_f64 v[39:40], v[9:10], v[35:36], v[37:38]
	v_fma_f64 v[37:38], v[9:10], v[33:34], -v[41:42]
	s_delay_alu instid0(VALU_DEP_2) | instskip(NEXT) | instid1(VALU_DEP_2)
	v_mul_f64 v[41:42], v[7:8], v[39:40]
	v_mul_f64 v[43:44], v[7:8], v[37:38]
	s_delay_alu instid0(VALU_DEP_2) | instskip(NEXT) | instid1(VALU_DEP_2)
	v_fma_f64 v[41:42], v[5:6], v[37:38], -v[41:42]
	v_fma_f64 v[43:44], v[5:6], v[39:40], v[43:44]
	s_delay_alu instid0(VALU_DEP_2) | instskip(NEXT) | instid1(VALU_DEP_2)
	v_mul_f64 v[45:46], v[19:20], v[41:42]
	v_mul_f64 v[49:50], v[19:20], v[43:44]
	s_delay_alu instid0(VALU_DEP_2) | instskip(NEXT) | instid1(VALU_DEP_2)
	v_fma_f64 v[47:48], v[17:18], v[43:44], v[45:46]
	v_fma_f64 v[45:46], v[17:18], v[41:42], -v[49:50]
	s_delay_alu instid0(VALU_DEP_2) | instskip(NEXT) | instid1(VALU_DEP_2)
	v_mul_f64 v[49:50], v[23:24], v[47:48]
	v_mul_f64 v[51:52], v[23:24], v[45:46]
	;; [unrolled: 12-line block ×3, first 2 shown]
	s_delay_alu instid0(VALU_DEP_2) | instskip(NEXT) | instid1(VALU_DEP_2)
	v_fma_f64 v[57:58], v[29:30], v[49:50], -v[57:58]
	v_fma_f64 v[59:60], v[29:30], v[51:52], v[59:60]
	s_delay_alu instid0(VALU_DEP_2) | instskip(NEXT) | instid1(VALU_DEP_2)
	v_dual_mov_b32 v62, v58 :: v_dual_and_b32 v73, 15, v84
	v_dual_mov_b32 v61, v57 :: v_dual_mov_b32 v64, v60
	v_mov_b32_dpp v69, v57 row_shr:1 row_mask:0xf bank_mask:0xf
	v_mov_b32_dpp v70, v58 row_shr:1 row_mask:0xf bank_mask:0xf
	;; [unrolled: 1-line block ×4, first 2 shown]
	v_dual_mov_b32 v63, v59 :: v_dual_mov_b32 v66, v60
	v_dual_mov_b32 v65, v59 :: v_dual_mov_b32 v68, v58
	v_mov_b32_e32 v67, v57
	v_cmpx_ne_u32_e32 0, v73
; %bb.89:
	v_mul_f64 v[61:62], v[57:58], v[71:72]
	v_mul_f64 v[65:66], v[59:60], v[71:72]
	s_delay_alu instid0(VALU_DEP_2) | instskip(NEXT) | instid1(VALU_DEP_2)
	v_fma_f64 v[63:64], v[59:60], v[69:70], v[61:62]
	v_fma_f64 v[61:62], v[57:58], v[69:70], -v[65:66]
	s_delay_alu instid0(VALU_DEP_2) | instskip(NEXT) | instid1(VALU_DEP_2)
	v_dual_mov_b32 v66, v64 :: v_dual_mov_b32 v65, v63
	v_dual_mov_b32 v68, v62 :: v_dual_mov_b32 v67, v61
; %bb.90:
	s_or_b32 exec_lo, exec_lo, s4
	s_delay_alu instid0(VALU_DEP_1) | instskip(NEXT) | instid1(VALU_DEP_2)
	v_mov_b32_dpp v69, v67 row_shr:2 row_mask:0xf bank_mask:0xf
	v_mov_b32_dpp v70, v68 row_shr:2 row_mask:0xf bank_mask:0xf
	v_mov_b32_dpp v71, v65 row_shr:2 row_mask:0xf bank_mask:0xf
	v_mov_b32_dpp v72, v66 row_shr:2 row_mask:0xf bank_mask:0xf
	s_mov_b32 s4, exec_lo
	v_cmpx_lt_u32_e32 1, v73
; %bb.91:
	s_delay_alu instid0(VALU_DEP_2) | instskip(SKIP_1) | instid1(VALU_DEP_2)
	v_mul_f64 v[65:66], v[61:62], v[71:72]
	v_mul_f64 v[67:68], v[63:64], v[71:72]
	v_fma_f64 v[65:66], v[63:64], v[69:70], v[65:66]
	s_delay_alu instid0(VALU_DEP_2) | instskip(NEXT) | instid1(VALU_DEP_2)
	v_fma_f64 v[67:68], v[61:62], v[69:70], -v[67:68]
	v_dual_mov_b32 v63, v65 :: v_dual_mov_b32 v64, v66
	s_delay_alu instid0(VALU_DEP_2)
	v_dual_mov_b32 v61, v67 :: v_dual_mov_b32 v62, v68
; %bb.92:
	s_or_b32 exec_lo, exec_lo, s4
	v_mov_b32_dpp v69, v67 row_shr:4 row_mask:0xf bank_mask:0xf
	v_mov_b32_dpp v70, v68 row_shr:4 row_mask:0xf bank_mask:0xf
	v_mov_b32_dpp v71, v65 row_shr:4 row_mask:0xf bank_mask:0xf
	v_mov_b32_dpp v72, v66 row_shr:4 row_mask:0xf bank_mask:0xf
	s_mov_b32 s4, exec_lo
	v_cmpx_lt_u32_e32 3, v73
; %bb.93:
	s_delay_alu instid0(VALU_DEP_2) | instskip(SKIP_1) | instid1(VALU_DEP_2)
	v_mul_f64 v[65:66], v[61:62], v[71:72]
	v_mul_f64 v[67:68], v[63:64], v[71:72]
	v_fma_f64 v[65:66], v[63:64], v[69:70], v[65:66]
	s_delay_alu instid0(VALU_DEP_2) | instskip(NEXT) | instid1(VALU_DEP_2)
	v_fma_f64 v[67:68], v[61:62], v[69:70], -v[67:68]
	v_dual_mov_b32 v63, v65 :: v_dual_mov_b32 v64, v66
	s_delay_alu instid0(VALU_DEP_2)
	v_dual_mov_b32 v61, v67 :: v_dual_mov_b32 v62, v68
; %bb.94:
	s_or_b32 exec_lo, exec_lo, s4
	;; [unrolled: 18-line block ×3, first 2 shown]
	ds_swizzle_b32 v67, v67 offset:swizzle(BROADCAST,32,15)
	ds_swizzle_b32 v68, v68 offset:swizzle(BROADCAST,32,15)
	;; [unrolled: 1-line block ×4, first 2 shown]
	v_and_b32_e32 v69, 16, v84
	s_mov_b32 s4, exec_lo
	s_delay_alu instid0(VALU_DEP_1)
	v_cmpx_ne_u32_e32 0, v69
	s_cbranch_execz .LBB66_98
; %bb.97:
	s_waitcnt lgkmcnt(0)
	v_mul_f64 v[69:70], v[61:62], v[65:66]
	v_mul_f64 v[65:66], v[63:64], v[65:66]
	s_delay_alu instid0(VALU_DEP_2) | instskip(NEXT) | instid1(VALU_DEP_2)
	v_fma_f64 v[63:64], v[63:64], v[67:68], v[69:70]
	v_fma_f64 v[61:62], v[61:62], v[67:68], -v[65:66]
.LBB66_98:
	s_or_b32 exec_lo, exec_lo, s4
	s_waitcnt lgkmcnt(1)
	v_or_b32_e32 v65, 31, v0
	v_lshrrev_b32_e32 v85, 5, v0
	s_mov_b32 s4, exec_lo
	s_delay_alu instid0(VALU_DEP_2)
	v_cmpx_eq_u32_e64 v65, v0
	s_cbranch_execz .LBB66_100
; %bb.99:
	s_delay_alu instid0(VALU_DEP_2)
	v_lshlrev_b32_e32 v65, 4, v85
	ds_store_b128 v65, v[61:64]
.LBB66_100:
	s_or_b32 exec_lo, exec_lo, s4
	s_delay_alu instid0(SALU_CYCLE_1)
	s_mov_b32 s4, exec_lo
	s_waitcnt lgkmcnt(0)
	s_barrier
	buffer_gl0_inv
	v_cmpx_gt_u32_e32 8, v0
	s_cbranch_execz .LBB66_108
; %bb.101:
	ds_load_b128 v[65:68], v82
	v_and_b32_e32 v86, 7, v84
	s_mov_b32 s5, exec_lo
	s_waitcnt lgkmcnt(0)
	v_mov_b32_e32 v69, v67
	v_mov_b32_dpp v71, v65 row_shr:1 row_mask:0xf bank_mask:0xf
	v_mov_b32_dpp v72, v66 row_shr:1 row_mask:0xf bank_mask:0xf
	;; [unrolled: 1-line block ×4, first 2 shown]
	v_mov_b32_e32 v70, v68
	v_cmpx_ne_u32_e32 0, v86
; %bb.102:
	s_delay_alu instid0(VALU_DEP_3) | instskip(SKIP_1) | instid1(VALU_DEP_2)
	v_mul_f64 v[69:70], v[65:66], v[73:74]
	v_mul_f64 v[73:74], v[67:68], v[73:74]
	v_fma_f64 v[69:70], v[67:68], v[71:72], v[69:70]
	s_delay_alu instid0(VALU_DEP_2) | instskip(NEXT) | instid1(VALU_DEP_2)
	v_fma_f64 v[65:66], v[65:66], v[71:72], -v[73:74]
	v_dual_mov_b32 v67, v69 :: v_dual_mov_b32 v68, v70
; %bb.103:
	s_or_b32 exec_lo, exec_lo, s5
	s_delay_alu instid0(VALU_DEP_2) | instskip(NEXT) | instid1(VALU_DEP_3)
	v_mov_b32_dpp v71, v65 row_shr:2 row_mask:0xf bank_mask:0xf
	v_mov_b32_dpp v72, v66 row_shr:2 row_mask:0xf bank_mask:0xf
	;; [unrolled: 1-line block ×4, first 2 shown]
	s_mov_b32 s5, exec_lo
	v_cmpx_lt_u32_e32 1, v86
; %bb.104:
	s_delay_alu instid0(VALU_DEP_2) | instskip(SKIP_1) | instid1(VALU_DEP_2)
	v_mul_f64 v[69:70], v[65:66], v[73:74]
	v_mul_f64 v[73:74], v[67:68], v[73:74]
	v_fma_f64 v[69:70], v[67:68], v[71:72], v[69:70]
	s_delay_alu instid0(VALU_DEP_2) | instskip(NEXT) | instid1(VALU_DEP_2)
	v_fma_f64 v[65:66], v[65:66], v[71:72], -v[73:74]
	v_dual_mov_b32 v67, v69 :: v_dual_mov_b32 v68, v70
; %bb.105:
	s_or_b32 exec_lo, exec_lo, s5
	s_delay_alu instid0(VALU_DEP_2) | instskip(NEXT) | instid1(VALU_DEP_3)
	v_mov_b32_dpp v71, v65 row_shr:4 row_mask:0xf bank_mask:0xf
	v_mov_b32_dpp v72, v66 row_shr:4 row_mask:0xf bank_mask:0xf
	;; [unrolled: 1-line block ×4, first 2 shown]
	s_mov_b32 s5, exec_lo
	v_cmpx_lt_u32_e32 3, v86
; %bb.106:
	s_delay_alu instid0(VALU_DEP_2) | instskip(SKIP_1) | instid1(VALU_DEP_2)
	v_mul_f64 v[73:74], v[65:66], v[69:70]
	v_mul_f64 v[69:70], v[67:68], v[69:70]
	v_fma_f64 v[67:68], v[67:68], v[71:72], v[73:74]
	s_delay_alu instid0(VALU_DEP_2)
	v_fma_f64 v[65:66], v[65:66], v[71:72], -v[69:70]
; %bb.107:
	s_or_b32 exec_lo, exec_lo, s5
	ds_store_b128 v82, v[65:68]
.LBB66_108:
	s_or_b32 exec_lo, exec_lo, s4
	v_mov_b32_e32 v67, 0
	v_mov_b32_e32 v68, 0
	s_delay_alu instid0(VALU_DEP_2)
	v_mov_b32_e32 v65, v67
	s_mov_b32 s4, exec_lo
	s_waitcnt lgkmcnt(0)
	s_barrier
	v_mov_b32_e32 v66, v68
	buffer_gl0_inv
	v_cmpx_lt_u32_e32 31, v0
	s_cbranch_execz .LBB66_110
; %bb.109:
	v_lshl_add_u32 v65, v85, 4, -16
	ds_load_b128 v[65:68], v65
	s_waitcnt lgkmcnt(0)
	v_mul_f64 v[69:70], v[63:64], v[67:68]
	v_mul_f64 v[71:72], v[61:62], v[67:68]
	s_delay_alu instid0(VALU_DEP_2) | instskip(NEXT) | instid1(VALU_DEP_2)
	v_fma_f64 v[61:62], v[61:62], v[65:66], -v[69:70]
	v_fma_f64 v[63:64], v[63:64], v[65:66], v[71:72]
.LBB66_110:
	s_or_b32 exec_lo, exec_lo, s4
	v_add_nc_u32_e32 v69, -1, v84
	s_delay_alu instid0(VALU_DEP_1) | instskip(NEXT) | instid1(VALU_DEP_1)
	v_cmp_gt_i32_e64 s3, 0, v69
	v_cndmask_b32_e64 v69, v69, v84, s3
	s_delay_alu instid0(VALU_DEP_1)
	v_lshlrev_b32_e32 v69, 2, v69
	ds_bpermute_b32 v61, v69, v61
	ds_bpermute_b32 v62, v69, v62
	;; [unrolled: 1-line block ×4, first 2 shown]
	s_and_saveexec_b32 s3, s2
	s_cbranch_execz .LBB66_112
; %bb.111:
	v_cmp_eq_u32_e64 s2, 0, v84
	s_waitcnt lgkmcnt(0)
	s_delay_alu instid0(VALU_DEP_1) | instskip(SKIP_3) | instid1(VALU_DEP_3)
	v_cndmask_b32_e64 v34, v64, v68, s2
	v_cndmask_b32_e64 v33, v63, v67, s2
	;; [unrolled: 1-line block ×4, first 2 shown]
	v_mul_f64 v[35:36], v[1:2], v[33:34]
	v_mul_f64 v[33:34], v[3:4], v[33:34]
	s_delay_alu instid0(VALU_DEP_2) | instskip(NEXT) | instid1(VALU_DEP_2)
	v_fma_f64 v[3:4], v[3:4], v[37:38], v[35:36]
	v_fma_f64 v[1:2], v[1:2], v[37:38], -v[33:34]
	s_delay_alu instid0(VALU_DEP_2) | instskip(NEXT) | instid1(VALU_DEP_2)
	v_mul_f64 v[33:34], v[15:16], v[3:4]
	v_mul_f64 v[15:16], v[15:16], v[1:2]
	s_delay_alu instid0(VALU_DEP_2) | instskip(NEXT) | instid1(VALU_DEP_2)
	v_fma_f64 v[33:34], v[13:14], v[1:2], -v[33:34]
	v_fma_f64 v[35:36], v[13:14], v[3:4], v[15:16]
	s_delay_alu instid0(VALU_DEP_2) | instskip(NEXT) | instid1(VALU_DEP_2)
	v_mul_f64 v[13:14], v[11:12], v[33:34]
	v_mul_f64 v[11:12], v[11:12], v[35:36]
	s_delay_alu instid0(VALU_DEP_2) | instskip(NEXT) | instid1(VALU_DEP_2)
	v_fma_f64 v[39:40], v[9:10], v[35:36], v[13:14]
	v_fma_f64 v[37:38], v[9:10], v[33:34], -v[11:12]
	s_delay_alu instid0(VALU_DEP_2) | instskip(NEXT) | instid1(VALU_DEP_2)
	v_mul_f64 v[9:10], v[7:8], v[39:40]
	v_mul_f64 v[7:8], v[7:8], v[37:38]
	s_delay_alu instid0(VALU_DEP_2) | instskip(NEXT) | instid1(VALU_DEP_2)
	v_fma_f64 v[41:42], v[5:6], v[37:38], -v[9:10]
	v_fma_f64 v[43:44], v[5:6], v[39:40], v[7:8]
	s_delay_alu instid0(VALU_DEP_2) | instskip(NEXT) | instid1(VALU_DEP_2)
	;; [unrolled: 12-line block ×3, first 2 shown]
	v_mul_f64 v[5:6], v[27:28], v[53:54]
	v_mul_f64 v[7:8], v[27:28], v[55:56]
	s_delay_alu instid0(VALU_DEP_2) | instskip(NEXT) | instid1(VALU_DEP_2)
	v_fma_f64 v[51:52], v[25:26], v[55:56], v[5:6]
	v_fma_f64 v[49:50], v[25:26], v[53:54], -v[7:8]
	s_delay_alu instid0(VALU_DEP_2) | instskip(NEXT) | instid1(VALU_DEP_2)
	v_mul_f64 v[5:6], v[31:32], v[51:52]
	v_mul_f64 v[7:8], v[31:32], v[49:50]
	s_delay_alu instid0(VALU_DEP_2) | instskip(NEXT) | instid1(VALU_DEP_2)
	v_fma_f64 v[57:58], v[29:30], v[49:50], -v[5:6]
	v_fma_f64 v[59:60], v[29:30], v[51:52], v[7:8]
.LBB66_112:
	s_or_b32 exec_lo, exec_lo, s3
	s_and_saveexec_b32 s2, vcc_lo
	s_cbranch_execz .LBB66_114
; %bb.113:
	v_dual_mov_b32 v9, 0 :: v_dual_mov_b32 v10, 2
	ds_load_b128 v[5:8], v9 offset:112
	s_waitcnt lgkmcnt(0)
	global_store_b128 v9, v[5:8], s[10:11] offset:512
	s_waitcnt_vscnt null, 0x0
	buffer_gl1_inv
	buffer_gl0_inv
	global_store_b8 v9, v10, s[22:23] offset:32
.LBB66_114:
	s_or_b32 exec_lo, exec_lo, s2
	s_waitcnt lgkmcnt(2)
	v_dual_mov_b32 v62, v2 :: v_dual_mov_b32 v61, v1
	s_waitcnt lgkmcnt(0)
	v_dual_mov_b32 v64, v4 :: v_dual_mov_b32 v63, v3
.LBB66_115:
	v_lshlrev_b32_e32 v2, 7, v0
	v_lshrrev_b32_e32 v1, 5, v0
	s_add_u32 s2, s6, s20
	s_addc_u32 s3, s7, s21
	s_and_b32 vcc_lo, exec_lo, s26
	s_mov_b32 s4, -1
	s_waitcnt lgkmcnt(0)
	s_waitcnt_vscnt null, 0x0
	s_barrier
	buffer_gl0_inv
	s_cbranch_vccz .LBB66_117
; %bb.116:
	v_lshl_add_u32 v3, v83, 4, v2
	v_lshrrev_b32_e32 v11, 5, v80
	v_lshrrev_b32_e32 v12, 5, v79
	;; [unrolled: 1-line block ×4, first 2 shown]
	ds_store_b128 v3, v[61:64]
	ds_store_b128 v3, v[33:36] offset:16
	ds_store_b128 v3, v[37:40] offset:32
	;; [unrolled: 1-line block ×7, first 2 shown]
	v_lshrrev_b32_e32 v3, 5, v81
	v_lshrrev_b32_e32 v27, 5, v76
	v_add_lshl_u32 v4, v1, v0, 4
	v_add_lshl_u32 v11, v11, v0, 4
	v_lshrrev_b32_e32 v28, 5, v75
	v_add_lshl_u32 v7, v3, v0, 4
	v_add_lshl_u32 v15, v12, v0, 4
	;; [unrolled: 1-line block ×5, first 2 shown]
	s_waitcnt lgkmcnt(0)
	s_barrier
	buffer_gl0_inv
	ds_load_b128 v[3:6], v4
	ds_load_b128 v[7:10], v7 offset:4096
	ds_load_b128 v[11:14], v11 offset:8192
	;; [unrolled: 1-line block ×5, first 2 shown]
	v_add_lshl_u32 v31, v28, v0, 4
	v_add_co_u32 v71, s4, s2, v82
	ds_load_b128 v[27:30], v27 offset:24576
	ds_load_b128 v[65:68], v31 offset:28672
	v_add_co_ci_u32_e64 v72, null, s3, 0, s4
	v_add_co_u32 v31, vcc_lo, v71, 0x2000
	s_mov_b32 s4, 0
	s_delay_alu instid0(VALU_DEP_2)
	v_add_co_ci_u32_e32 v32, vcc_lo, 0, v72, vcc_lo
	v_add_co_u32 v69, vcc_lo, v71, 0x4000
	v_add_co_ci_u32_e32 v70, vcc_lo, 0, v72, vcc_lo
	s_waitcnt lgkmcnt(5)
	global_store_b128 v[31:32], v[11:14], off
	s_waitcnt lgkmcnt(4)
	global_store_b128 v[69:70], v[15:18], off offset:-4096
	v_add_co_u32 v11, vcc_lo, v71, 0x6000
	v_add_co_ci_u32_e32 v12, vcc_lo, 0, v72, vcc_lo
	v_add_co_u32 v13, vcc_lo, 0x7000, v71
	v_add_co_ci_u32_e32 v14, vcc_lo, 0, v72, vcc_lo
	s_waitcnt lgkmcnt(3)
	global_store_b128 v[69:70], v[19:22], off
	s_waitcnt lgkmcnt(2)
	s_clause 0x1
	global_store_b128 v[11:12], v[23:26], off offset:-4096
	global_store_b128 v82, v[3:6], s[2:3]
	s_waitcnt lgkmcnt(1)
	s_clause 0x1
	global_store_b128 v[11:12], v[27:30], off
	global_store_b128 v[31:32], v[7:10], off offset:-4096
	s_waitcnt lgkmcnt(0)
	global_store_b128 v[13:14], v[65:68], off
.LBB66_117:
	s_and_not1_b32 vcc_lo, exec_lo, s4
	s_cbranch_vccnz .LBB66_154
; %bb.118:
	v_lshl_add_u32 v2, v83, 4, v2
	v_lshrrev_b32_e32 v3, 5, v81
	v_add_lshl_u32 v1, v1, v0, 4
	v_lshrrev_b32_e32 v10, 5, v80
	v_lshrrev_b32_e32 v11, 5, v78
	ds_store_b128 v2, v[61:64]
	ds_store_b128 v2, v[33:36] offset:16
	ds_store_b128 v2, v[37:40] offset:32
	;; [unrolled: 1-line block ×7, first 2 shown]
	v_add_lshl_u32 v2, v3, v0, 4
	s_waitcnt lgkmcnt(0)
	s_waitcnt_vscnt null, 0x0
	s_barrier
	buffer_gl0_inv
	ds_load_b128 v[6:9], v1
	ds_load_b128 v[2:5], v2 offset:4096
	v_add_lshl_u32 v1, v10, v0, 4
	v_lshrrev_b32_e32 v10, 5, v79
	v_lshrrev_b32_e32 v12, 5, v77
	;; [unrolled: 1-line block ×4, first 2 shown]
	v_add_lshl_u32 v18, v11, v0, 4
	v_add_lshl_u32 v15, v10, v0, 4
	v_add_lshl_u32 v22, v12, v0, 4
	v_add_lshl_u32 v26, v13, v0, 4
	v_add_lshl_u32 v30, v14, v0, 4
	ds_load_b128 v[10:13], v1 offset:8192
	ds_load_b128 v[14:17], v15 offset:12288
	ds_load_b128 v[18:21], v18 offset:16384
	ds_load_b128 v[22:25], v22 offset:20480
	ds_load_b128 v[26:29], v26 offset:24576
	ds_load_b128 v[30:33], v30 offset:28672
	v_add_co_u32 v34, s2, s2, v82
	v_mov_b32_e32 v1, 0
	v_add_co_ci_u32_e64 v35, null, s3, 0, s2
	s_mov_b32 s2, exec_lo
	v_cmpx_gt_u32_e64 s24, v0
	s_cbranch_execnz .LBB66_155
; %bb.119:
	s_or_b32 exec_lo, exec_lo, s2
	s_delay_alu instid0(SALU_CYCLE_1)
	s_mov_b32 s2, exec_lo
	v_cmpx_gt_u32_e64 s24, v81
	s_cbranch_execnz .LBB66_156
.LBB66_120:
	s_or_b32 exec_lo, exec_lo, s2
	s_delay_alu instid0(SALU_CYCLE_1)
	s_mov_b32 s2, exec_lo
	v_cmpx_gt_u32_e64 s24, v80
	s_cbranch_execnz .LBB66_157
.LBB66_121:
	s_or_b32 exec_lo, exec_lo, s2
	s_delay_alu instid0(SALU_CYCLE_1)
	s_mov_b32 s2, exec_lo
	v_cmpx_gt_u32_e64 s24, v79
	s_cbranch_execnz .LBB66_158
.LBB66_122:
	s_or_b32 exec_lo, exec_lo, s2
	s_delay_alu instid0(SALU_CYCLE_1)
	s_mov_b32 s2, exec_lo
	v_cmpx_gt_u32_e64 s24, v78
	s_cbranch_execnz .LBB66_159
.LBB66_123:
	s_or_b32 exec_lo, exec_lo, s2
	s_delay_alu instid0(SALU_CYCLE_1)
	s_mov_b32 s2, exec_lo
	v_cmpx_gt_u32_e64 s24, v77
	s_cbranch_execnz .LBB66_160
.LBB66_124:
	s_or_b32 exec_lo, exec_lo, s2
	s_delay_alu instid0(SALU_CYCLE_1)
	s_mov_b32 s2, exec_lo
	v_cmpx_gt_u32_e64 s24, v76
	s_cbranch_execnz .LBB66_161
.LBB66_125:
	s_or_b32 exec_lo, exec_lo, s2
	s_delay_alu instid0(SALU_CYCLE_1)
	s_mov_b32 s2, exec_lo
	v_cmpx_gt_u32_e64 s24, v75
	s_cbranch_execz .LBB66_127
.LBB66_126:
	v_add_co_u32 v34, vcc_lo, 0x7000, v34
	v_add_co_ci_u32_e32 v35, vcc_lo, 0, v35, vcc_lo
	s_waitcnt lgkmcnt(0)
	global_store_b128 v[34:35], v[30:33], off
.LBB66_127:
	s_or_b32 exec_lo, exec_lo, s2
	s_load_b32 s0, s[0:1], 0x68
	s_waitcnt lgkmcnt(0)
	s_bfe_u32 s0, s0, 0x10008
	s_delay_alu instid0(SALU_CYCLE_1)
	s_cmp_eq_u32 s0, 0
	s_cbranch_scc1 .LBB66_154
; %bb.128:
	s_add_u32 s0, s24, -1
	s_addc_u32 s1, s25, -1
	s_delay_alu instid0(SALU_CYCLE_1)
	s_lshr_b64 s[2:3], s[0:1], 3
	s_mov_b32 s1, exec_lo
	v_cmpx_eq_u64_e64 s[2:3], v[0:1]
	s_cbranch_execz .LBB66_154
; %bb.129:
	s_and_b32 s0, s0, 7
	s_mov_b32 s1, 0
	s_delay_alu instid0(SALU_CYCLE_1) | instskip(NEXT) | instid1(VALU_DEP_1)
	v_cmp_lt_i64_e64 s2, s[0:1], 4
	s_and_b32 vcc_lo, exec_lo, s2
	s_mov_b32 s2, -1
	s_cbranch_vccnz .LBB66_142
; %bb.130:
	v_cmp_lt_i64_e64 s2, s[0:1], 6
	s_delay_alu instid0(VALU_DEP_1)
	s_and_b32 vcc_lo, exec_lo, s2
	s_mov_b32 s2, -1
	s_cbranch_vccnz .LBB66_136
; %bb.131:
	v_cmp_gt_i64_e64 s2, s[0:1], 6
	s_delay_alu instid0(VALU_DEP_1)
	s_and_b32 vcc_lo, exec_lo, s2
	s_mov_b32 s2, -1
	s_cbranch_vccz .LBB66_133
; %bb.132:
	v_mov_b32_e32 v0, 0
	s_mov_b32 s2, 0
	global_store_b128 v0, v[30:33], s[14:15]
.LBB66_133:
	s_and_not1_b32 vcc_lo, exec_lo, s2
	s_cbranch_vccnz .LBB66_135
; %bb.134:
	v_mov_b32_e32 v0, 0
	global_store_b128 v0, v[26:29], s[14:15]
.LBB66_135:
	s_mov_b32 s2, 0
.LBB66_136:
	s_delay_alu instid0(SALU_CYCLE_1)
	s_and_not1_b32 vcc_lo, exec_lo, s2
	s_cbranch_vccnz .LBB66_141
; %bb.137:
	v_cmp_gt_i64_e64 s2, s[0:1], 4
	s_delay_alu instid0(VALU_DEP_1)
	s_and_b32 vcc_lo, exec_lo, s2
	s_mov_b32 s2, -1
	s_cbranch_vccz .LBB66_139
; %bb.138:
	v_mov_b32_e32 v0, 0
	s_mov_b32 s2, 0
	global_store_b128 v0, v[22:25], s[14:15]
.LBB66_139:
	s_and_not1_b32 vcc_lo, exec_lo, s2
	s_cbranch_vccnz .LBB66_141
; %bb.140:
	v_mov_b32_e32 v0, 0
	global_store_b128 v0, v[18:21], s[14:15]
.LBB66_141:
	s_mov_b32 s2, 0
.LBB66_142:
	s_delay_alu instid0(SALU_CYCLE_1)
	s_and_not1_b32 vcc_lo, exec_lo, s2
	s_cbranch_vccnz .LBB66_154
; %bb.143:
	v_cmp_lt_i64_e64 s2, s[0:1], 2
	s_delay_alu instid0(VALU_DEP_1)
	s_and_b32 vcc_lo, exec_lo, s2
	s_mov_b32 s2, -1
	s_cbranch_vccnz .LBB66_149
; %bb.144:
	v_cmp_gt_i64_e64 s2, s[0:1], 2
	s_delay_alu instid0(VALU_DEP_1)
	s_and_b32 vcc_lo, exec_lo, s2
	s_mov_b32 s2, -1
	s_cbranch_vccz .LBB66_146
; %bb.145:
	v_mov_b32_e32 v0, 0
	s_mov_b32 s2, 0
	global_store_b128 v0, v[14:17], s[14:15]
.LBB66_146:
	s_and_not1_b32 vcc_lo, exec_lo, s2
	s_cbranch_vccnz .LBB66_148
; %bb.147:
	v_mov_b32_e32 v0, 0
	global_store_b128 v0, v[10:13], s[14:15]
.LBB66_148:
	s_mov_b32 s2, 0
.LBB66_149:
	s_delay_alu instid0(SALU_CYCLE_1)
	s_and_not1_b32 vcc_lo, exec_lo, s2
	s_cbranch_vccnz .LBB66_154
; %bb.150:
	s_cmp_eq_u64 s[0:1], 1
	s_mov_b32 s0, -1
	s_cbranch_scc1 .LBB66_152
; %bb.151:
	v_mov_b32_e32 v0, 0
	s_mov_b32 s0, 0
	global_store_b128 v0, v[6:9], s[14:15]
.LBB66_152:
	s_and_not1_b32 vcc_lo, exec_lo, s0
	s_cbranch_vccnz .LBB66_154
; %bb.153:
	v_mov_b32_e32 v0, 0
	global_store_b128 v0, v[2:5], s[14:15]
.LBB66_154:
	s_nop 0
	s_sendmsg sendmsg(MSG_DEALLOC_VGPRS)
	s_endpgm
.LBB66_155:
	s_waitcnt lgkmcnt(7)
	global_store_b128 v[34:35], v[6:9], off
	s_or_b32 exec_lo, exec_lo, s2
	s_delay_alu instid0(SALU_CYCLE_1)
	s_mov_b32 s2, exec_lo
	v_cmpx_gt_u32_e64 s24, v81
	s_cbranch_execz .LBB66_120
.LBB66_156:
	v_add_co_u32 v36, vcc_lo, 0x1000, v34
	v_add_co_ci_u32_e32 v37, vcc_lo, 0, v35, vcc_lo
	s_waitcnt lgkmcnt(6)
	global_store_b128 v[36:37], v[2:5], off
	s_or_b32 exec_lo, exec_lo, s2
	s_delay_alu instid0(SALU_CYCLE_1)
	s_mov_b32 s2, exec_lo
	v_cmpx_gt_u32_e64 s24, v80
	s_cbranch_execz .LBB66_121
.LBB66_157:
	v_add_co_u32 v36, vcc_lo, 0x2000, v34
	v_add_co_ci_u32_e32 v37, vcc_lo, 0, v35, vcc_lo
	s_waitcnt lgkmcnt(5)
	global_store_b128 v[36:37], v[10:13], off
	s_or_b32 exec_lo, exec_lo, s2
	s_delay_alu instid0(SALU_CYCLE_1)
	s_mov_b32 s2, exec_lo
	v_cmpx_gt_u32_e64 s24, v79
	s_cbranch_execz .LBB66_122
.LBB66_158:
	v_add_co_u32 v36, vcc_lo, 0x3000, v34
	v_add_co_ci_u32_e32 v37, vcc_lo, 0, v35, vcc_lo
	s_waitcnt lgkmcnt(4)
	global_store_b128 v[36:37], v[14:17], off
	s_or_b32 exec_lo, exec_lo, s2
	s_delay_alu instid0(SALU_CYCLE_1)
	s_mov_b32 s2, exec_lo
	v_cmpx_gt_u32_e64 s24, v78
	s_cbranch_execz .LBB66_123
.LBB66_159:
	v_add_co_u32 v36, vcc_lo, 0x4000, v34
	v_add_co_ci_u32_e32 v37, vcc_lo, 0, v35, vcc_lo
	s_waitcnt lgkmcnt(3)
	global_store_b128 v[36:37], v[18:21], off
	s_or_b32 exec_lo, exec_lo, s2
	s_delay_alu instid0(SALU_CYCLE_1)
	s_mov_b32 s2, exec_lo
	v_cmpx_gt_u32_e64 s24, v77
	s_cbranch_execz .LBB66_124
.LBB66_160:
	v_add_co_u32 v36, vcc_lo, 0x5000, v34
	v_add_co_ci_u32_e32 v37, vcc_lo, 0, v35, vcc_lo
	s_waitcnt lgkmcnt(2)
	global_store_b128 v[36:37], v[22:25], off
	s_or_b32 exec_lo, exec_lo, s2
	s_delay_alu instid0(SALU_CYCLE_1)
	s_mov_b32 s2, exec_lo
	v_cmpx_gt_u32_e64 s24, v76
	s_cbranch_execz .LBB66_125
.LBB66_161:
	v_add_co_u32 v36, vcc_lo, 0x6000, v34
	v_add_co_ci_u32_e32 v37, vcc_lo, 0, v35, vcc_lo
	s_waitcnt lgkmcnt(1)
	global_store_b128 v[36:37], v[26:29], off
	s_or_b32 exec_lo, exec_lo, s2
	s_delay_alu instid0(SALU_CYCLE_1)
	s_mov_b32 s2, exec_lo
	v_cmpx_gt_u32_e64 s24, v75
	s_cbranch_execnz .LBB66_126
	s_branch .LBB66_127
	.section	.rodata,"a",@progbits
	.p2align	6, 0x0
	.amdhsa_kernel _ZN7rocprim17ROCPRIM_304000_NS6detail20lookback_scan_kernelILNS1_25lookback_scan_determinismE0ELb0ENS1_19wrapped_scan_configINS0_14default_configEN3c107complexIdEEEEPKS8_PS8_St10multipliesIS8_ES8_S8_NS1_19lookback_scan_stateIS8_Lb0ELb0EEEEEvT2_T3_mT5_T4_T7_jPT6_SN_bb
		.amdhsa_group_segment_fixed_size 33792
		.amdhsa_private_segment_fixed_size 0
		.amdhsa_kernarg_size 108
		.amdhsa_user_sgpr_count 15
		.amdhsa_user_sgpr_dispatch_ptr 0
		.amdhsa_user_sgpr_queue_ptr 0
		.amdhsa_user_sgpr_kernarg_segment_ptr 1
		.amdhsa_user_sgpr_dispatch_id 0
		.amdhsa_user_sgpr_private_segment_size 0
		.amdhsa_wavefront_size32 1
		.amdhsa_uses_dynamic_stack 0
		.amdhsa_enable_private_segment 0
		.amdhsa_system_sgpr_workgroup_id_x 1
		.amdhsa_system_sgpr_workgroup_id_y 0
		.amdhsa_system_sgpr_workgroup_id_z 0
		.amdhsa_system_sgpr_workgroup_info 0
		.amdhsa_system_vgpr_workitem_id 0
		.amdhsa_next_free_vgpr 87
		.amdhsa_next_free_sgpr 27
		.amdhsa_reserve_vcc 1
		.amdhsa_float_round_mode_32 0
		.amdhsa_float_round_mode_16_64 0
		.amdhsa_float_denorm_mode_32 3
		.amdhsa_float_denorm_mode_16_64 3
		.amdhsa_dx10_clamp 1
		.amdhsa_ieee_mode 1
		.amdhsa_fp16_overflow 0
		.amdhsa_workgroup_processor_mode 1
		.amdhsa_memory_ordered 1
		.amdhsa_forward_progress 0
		.amdhsa_shared_vgpr_count 0
		.amdhsa_exception_fp_ieee_invalid_op 0
		.amdhsa_exception_fp_denorm_src 0
		.amdhsa_exception_fp_ieee_div_zero 0
		.amdhsa_exception_fp_ieee_overflow 0
		.amdhsa_exception_fp_ieee_underflow 0
		.amdhsa_exception_fp_ieee_inexact 0
		.amdhsa_exception_int_div_zero 0
	.end_amdhsa_kernel
	.section	.text._ZN7rocprim17ROCPRIM_304000_NS6detail20lookback_scan_kernelILNS1_25lookback_scan_determinismE0ELb0ENS1_19wrapped_scan_configINS0_14default_configEN3c107complexIdEEEEPKS8_PS8_St10multipliesIS8_ES8_S8_NS1_19lookback_scan_stateIS8_Lb0ELb0EEEEEvT2_T3_mT5_T4_T7_jPT6_SN_bb,"axG",@progbits,_ZN7rocprim17ROCPRIM_304000_NS6detail20lookback_scan_kernelILNS1_25lookback_scan_determinismE0ELb0ENS1_19wrapped_scan_configINS0_14default_configEN3c107complexIdEEEEPKS8_PS8_St10multipliesIS8_ES8_S8_NS1_19lookback_scan_stateIS8_Lb0ELb0EEEEEvT2_T3_mT5_T4_T7_jPT6_SN_bb,comdat
.Lfunc_end66:
	.size	_ZN7rocprim17ROCPRIM_304000_NS6detail20lookback_scan_kernelILNS1_25lookback_scan_determinismE0ELb0ENS1_19wrapped_scan_configINS0_14default_configEN3c107complexIdEEEEPKS8_PS8_St10multipliesIS8_ES8_S8_NS1_19lookback_scan_stateIS8_Lb0ELb0EEEEEvT2_T3_mT5_T4_T7_jPT6_SN_bb, .Lfunc_end66-_ZN7rocprim17ROCPRIM_304000_NS6detail20lookback_scan_kernelILNS1_25lookback_scan_determinismE0ELb0ENS1_19wrapped_scan_configINS0_14default_configEN3c107complexIdEEEEPKS8_PS8_St10multipliesIS8_ES8_S8_NS1_19lookback_scan_stateIS8_Lb0ELb0EEEEEvT2_T3_mT5_T4_T7_jPT6_SN_bb
                                        ; -- End function
	.section	.AMDGPU.csdata,"",@progbits
; Kernel info:
; codeLenInByte = 9028
; NumSgprs: 29
; NumVgprs: 87
; ScratchSize: 0
; MemoryBound: 1
; FloatMode: 240
; IeeeMode: 1
; LDSByteSize: 33792 bytes/workgroup (compile time only)
; SGPRBlocks: 3
; VGPRBlocks: 10
; NumSGPRsForWavesPerEU: 29
; NumVGPRsForWavesPerEU: 87
; Occupancy: 6
; WaveLimiterHint : 1
; COMPUTE_PGM_RSRC2:SCRATCH_EN: 0
; COMPUTE_PGM_RSRC2:USER_SGPR: 15
; COMPUTE_PGM_RSRC2:TRAP_HANDLER: 0
; COMPUTE_PGM_RSRC2:TGID_X_EN: 1
; COMPUTE_PGM_RSRC2:TGID_Y_EN: 0
; COMPUTE_PGM_RSRC2:TGID_Z_EN: 0
; COMPUTE_PGM_RSRC2:TIDIG_COMP_CNT: 0
	.section	.text._ZN7rocprim17ROCPRIM_304000_NS6detail16transform_kernelINS1_24wrapped_transform_configINS0_14default_configEN3c107complexIdEEEES7_PS7_S9_NS0_8identityIS7_EEEEvT1_mT2_T3_,"axG",@progbits,_ZN7rocprim17ROCPRIM_304000_NS6detail16transform_kernelINS1_24wrapped_transform_configINS0_14default_configEN3c107complexIdEEEES7_PS7_S9_NS0_8identityIS7_EEEEvT1_mT2_T3_,comdat
	.protected	_ZN7rocprim17ROCPRIM_304000_NS6detail16transform_kernelINS1_24wrapped_transform_configINS0_14default_configEN3c107complexIdEEEES7_PS7_S9_NS0_8identityIS7_EEEEvT1_mT2_T3_ ; -- Begin function _ZN7rocprim17ROCPRIM_304000_NS6detail16transform_kernelINS1_24wrapped_transform_configINS0_14default_configEN3c107complexIdEEEES7_PS7_S9_NS0_8identityIS7_EEEEvT1_mT2_T3_
	.globl	_ZN7rocprim17ROCPRIM_304000_NS6detail16transform_kernelINS1_24wrapped_transform_configINS0_14default_configEN3c107complexIdEEEES7_PS7_S9_NS0_8identityIS7_EEEEvT1_mT2_T3_
	.p2align	8
	.type	_ZN7rocprim17ROCPRIM_304000_NS6detail16transform_kernelINS1_24wrapped_transform_configINS0_14default_configEN3c107complexIdEEEES7_PS7_S9_NS0_8identityIS7_EEEEvT1_mT2_T3_,@function
_ZN7rocprim17ROCPRIM_304000_NS6detail16transform_kernelINS1_24wrapped_transform_configINS0_14default_configEN3c107complexIdEEEES7_PS7_S9_NS0_8identityIS7_EEEEvT1_mT2_T3_: ; @_ZN7rocprim17ROCPRIM_304000_NS6detail16transform_kernelINS1_24wrapped_transform_configINS0_14default_configEN3c107complexIdEEEES7_PS7_S9_NS0_8identityIS7_EEEEvT1_mT2_T3_
; %bb.0:
	s_clause 0x1
	s_load_b32 s2, s[0:1], 0x20
	s_load_b128 s[4:7], s[0:1], 0x0
	s_waitcnt lgkmcnt(0)
	s_add_i32 s3, s2, -1
	s_lshl_b32 s2, s15, 10
	s_cmp_lg_u32 s15, s3
	s_cselect_b32 s3, -1, 0
	s_sub_i32 s6, s6, s2
	s_delay_alu instid0(SALU_CYCLE_1) | instskip(SKIP_1) | instid1(SALU_CYCLE_1)
	v_cmp_gt_u32_e32 vcc_lo, s6, v0
	s_or_b32 s3, vcc_lo, s3
	s_and_saveexec_b32 s6, s3
	s_cbranch_execz .LBB67_2
; %bb.1:
	s_load_b64 s[0:1], s[0:1], 0x10
	s_mov_b32 s3, 0
	v_lshlrev_b32_e32 v4, 4, v0
	s_lshl_b64 s[2:3], s[2:3], 4
	s_waitcnt lgkmcnt(0)
	s_add_u32 s0, s0, s2
	s_addc_u32 s1, s1, s3
	s_add_u32 s2, s4, s2
	s_addc_u32 s3, s5, s3
	global_load_b128 v[0:3], v4, s[2:3]
	s_waitcnt vmcnt(0)
	global_store_b128 v4, v[0:3], s[0:1]
.LBB67_2:
	s_nop 0
	s_sendmsg sendmsg(MSG_DEALLOC_VGPRS)
	s_endpgm
	.section	.rodata,"a",@progbits
	.p2align	6, 0x0
	.amdhsa_kernel _ZN7rocprim17ROCPRIM_304000_NS6detail16transform_kernelINS1_24wrapped_transform_configINS0_14default_configEN3c107complexIdEEEES7_PS7_S9_NS0_8identityIS7_EEEEvT1_mT2_T3_
		.amdhsa_group_segment_fixed_size 0
		.amdhsa_private_segment_fixed_size 0
		.amdhsa_kernarg_size 288
		.amdhsa_user_sgpr_count 15
		.amdhsa_user_sgpr_dispatch_ptr 0
		.amdhsa_user_sgpr_queue_ptr 0
		.amdhsa_user_sgpr_kernarg_segment_ptr 1
		.amdhsa_user_sgpr_dispatch_id 0
		.amdhsa_user_sgpr_private_segment_size 0
		.amdhsa_wavefront_size32 1
		.amdhsa_uses_dynamic_stack 0
		.amdhsa_enable_private_segment 0
		.amdhsa_system_sgpr_workgroup_id_x 1
		.amdhsa_system_sgpr_workgroup_id_y 0
		.amdhsa_system_sgpr_workgroup_id_z 0
		.amdhsa_system_sgpr_workgroup_info 0
		.amdhsa_system_vgpr_workitem_id 0
		.amdhsa_next_free_vgpr 5
		.amdhsa_next_free_sgpr 16
		.amdhsa_reserve_vcc 1
		.amdhsa_float_round_mode_32 0
		.amdhsa_float_round_mode_16_64 0
		.amdhsa_float_denorm_mode_32 3
		.amdhsa_float_denorm_mode_16_64 3
		.amdhsa_dx10_clamp 1
		.amdhsa_ieee_mode 1
		.amdhsa_fp16_overflow 0
		.amdhsa_workgroup_processor_mode 1
		.amdhsa_memory_ordered 1
		.amdhsa_forward_progress 0
		.amdhsa_shared_vgpr_count 0
		.amdhsa_exception_fp_ieee_invalid_op 0
		.amdhsa_exception_fp_denorm_src 0
		.amdhsa_exception_fp_ieee_div_zero 0
		.amdhsa_exception_fp_ieee_overflow 0
		.amdhsa_exception_fp_ieee_underflow 0
		.amdhsa_exception_fp_ieee_inexact 0
		.amdhsa_exception_int_div_zero 0
	.end_amdhsa_kernel
	.section	.text._ZN7rocprim17ROCPRIM_304000_NS6detail16transform_kernelINS1_24wrapped_transform_configINS0_14default_configEN3c107complexIdEEEES7_PS7_S9_NS0_8identityIS7_EEEEvT1_mT2_T3_,"axG",@progbits,_ZN7rocprim17ROCPRIM_304000_NS6detail16transform_kernelINS1_24wrapped_transform_configINS0_14default_configEN3c107complexIdEEEES7_PS7_S9_NS0_8identityIS7_EEEEvT1_mT2_T3_,comdat
.Lfunc_end67:
	.size	_ZN7rocprim17ROCPRIM_304000_NS6detail16transform_kernelINS1_24wrapped_transform_configINS0_14default_configEN3c107complexIdEEEES7_PS7_S9_NS0_8identityIS7_EEEEvT1_mT2_T3_, .Lfunc_end67-_ZN7rocprim17ROCPRIM_304000_NS6detail16transform_kernelINS1_24wrapped_transform_configINS0_14default_configEN3c107complexIdEEEES7_PS7_S9_NS0_8identityIS7_EEEEvT1_mT2_T3_
                                        ; -- End function
	.section	.AMDGPU.csdata,"",@progbits
; Kernel info:
; codeLenInByte = 136
; NumSgprs: 18
; NumVgprs: 5
; ScratchSize: 0
; MemoryBound: 0
; FloatMode: 240
; IeeeMode: 1
; LDSByteSize: 0 bytes/workgroup (compile time only)
; SGPRBlocks: 2
; VGPRBlocks: 0
; NumSGPRsForWavesPerEU: 18
; NumVGPRsForWavesPerEU: 5
; Occupancy: 16
; WaveLimiterHint : 0
; COMPUTE_PGM_RSRC2:SCRATCH_EN: 0
; COMPUTE_PGM_RSRC2:USER_SGPR: 15
; COMPUTE_PGM_RSRC2:TRAP_HANDLER: 0
; COMPUTE_PGM_RSRC2:TGID_X_EN: 1
; COMPUTE_PGM_RSRC2:TGID_Y_EN: 0
; COMPUTE_PGM_RSRC2:TGID_Z_EN: 0
; COMPUTE_PGM_RSRC2:TIDIG_COMP_CNT: 0
	.section	.text._ZN7rocprim17ROCPRIM_304000_NS6detail18single_scan_kernelILb0ENS1_19wrapped_scan_configINS0_14default_configEN3c107complexIdEEEEPKS7_PS7_St10multipliesIS7_ES7_S7_EEvT1_mT4_T2_T3_,"axG",@progbits,_ZN7rocprim17ROCPRIM_304000_NS6detail18single_scan_kernelILb0ENS1_19wrapped_scan_configINS0_14default_configEN3c107complexIdEEEEPKS7_PS7_St10multipliesIS7_ES7_S7_EEvT1_mT4_T2_T3_,comdat
	.protected	_ZN7rocprim17ROCPRIM_304000_NS6detail18single_scan_kernelILb0ENS1_19wrapped_scan_configINS0_14default_configEN3c107complexIdEEEEPKS7_PS7_St10multipliesIS7_ES7_S7_EEvT1_mT4_T2_T3_ ; -- Begin function _ZN7rocprim17ROCPRIM_304000_NS6detail18single_scan_kernelILb0ENS1_19wrapped_scan_configINS0_14default_configEN3c107complexIdEEEEPKS7_PS7_St10multipliesIS7_ES7_S7_EEvT1_mT4_T2_T3_
	.globl	_ZN7rocprim17ROCPRIM_304000_NS6detail18single_scan_kernelILb0ENS1_19wrapped_scan_configINS0_14default_configEN3c107complexIdEEEEPKS7_PS7_St10multipliesIS7_ES7_S7_EEvT1_mT4_T2_T3_
	.p2align	8
	.type	_ZN7rocprim17ROCPRIM_304000_NS6detail18single_scan_kernelILb0ENS1_19wrapped_scan_configINS0_14default_configEN3c107complexIdEEEEPKS7_PS7_St10multipliesIS7_ES7_S7_EEvT1_mT4_T2_T3_,@function
_ZN7rocprim17ROCPRIM_304000_NS6detail18single_scan_kernelILb0ENS1_19wrapped_scan_configINS0_14default_configEN3c107complexIdEEEEPKS7_PS7_St10multipliesIS7_ES7_S7_EEvT1_mT4_T2_T3_: ; @_ZN7rocprim17ROCPRIM_304000_NS6detail18single_scan_kernelILb0ENS1_19wrapped_scan_configINS0_14default_configEN3c107complexIdEEEEPKS7_PS7_St10multipliesIS7_ES7_S7_EEvT1_mT4_T2_T3_
; %bb.0:
	s_load_b128 s[8:11], s[0:1], 0x0
	s_waitcnt lgkmcnt(0)
	s_load_b128 s[12:15], s[8:9], 0x0
	v_lshlrev_b32_e32 v75, 4, v0
	v_cmp_gt_u32_e32 vcc_lo, s10, v0
	s_waitcnt lgkmcnt(0)
	v_dual_mov_b32 v3, s14 :: v_dual_mov_b32 v4, s15
	s_delay_alu instid0(VALU_DEP_3)
	v_add_co_u32 v33, s2, s8, v75
	v_dual_mov_b32 v1, s12 :: v_dual_mov_b32 v2, s13
	v_add_co_ci_u32_e64 v34, null, s9, 0, s2
	s_and_saveexec_b32 s2, vcc_lo
	s_cbranch_execz .LBB68_2
; %bb.1:
	global_load_b128 v[1:4], v[33:34], off
.LBB68_2:
	s_or_b32 exec_lo, exec_lo, s2
	v_or_b32_e32 v35, 0x100, v0
	v_dual_mov_b32 v7, s14 :: v_dual_mov_b32 v8, s15
	v_dual_mov_b32 v5, s12 :: v_dual_mov_b32 v6, s13
	s_delay_alu instid0(VALU_DEP_3) | instskip(NEXT) | instid1(VALU_DEP_1)
	v_cmp_gt_u32_e64 s2, s10, v35
	s_and_saveexec_b32 s4, s2
	s_cbranch_execz .LBB68_4
; %bb.3:
	v_add_co_u32 v5, s3, 0x1000, v33
	s_delay_alu instid0(VALU_DEP_1)
	v_add_co_ci_u32_e64 v6, s3, 0, v34, s3
	global_load_b128 v[5:8], v[5:6], off
.LBB68_4:
	s_or_b32 exec_lo, exec_lo, s4
	v_or_b32_e32 v36, 0x200, v0
	v_dual_mov_b32 v11, s14 :: v_dual_mov_b32 v12, s15
	v_dual_mov_b32 v9, s12 :: v_dual_mov_b32 v10, s13
	s_delay_alu instid0(VALU_DEP_3) | instskip(NEXT) | instid1(VALU_DEP_1)
	v_cmp_gt_u32_e64 s3, s10, v36
	s_and_saveexec_b32 s5, s3
	s_cbranch_execz .LBB68_6
; %bb.5:
	v_add_co_u32 v9, s4, 0x2000, v33
	s_delay_alu instid0(VALU_DEP_1)
	v_add_co_ci_u32_e64 v10, s4, 0, v34, s4
	global_load_b128 v[9:12], v[9:10], off
.LBB68_6:
	;; [unrolled: 14-line block ×7, first 2 shown]
	s_or_b32 exec_lo, exec_lo, s10
	v_lshrrev_b32_e32 v33, 1, v0
	v_lshrrev_b32_e32 v34, 1, v35
	;; [unrolled: 1-line block ×4, first 2 shown]
	v_mbcnt_lo_u32_b32 v86, -1, 0
	v_and_b32_e32 v85, 0x70, v33
	v_and_b32_e32 v33, 0xf0, v34
	;; [unrolled: 1-line block ×3, first 2 shown]
	v_lshrrev_b32_e32 v35, 1, v37
	v_and_b32_e32 v73, 15, v86
	v_add_nc_u32_e32 v76, v85, v75
	v_add_nc_u32_e32 v77, v33, v75
	;; [unrolled: 1-line block ×3, first 2 shown]
	v_lshrrev_b32_e32 v33, 1, v39
	v_and_b32_e32 v34, 0x1f0, v35
	s_waitcnt vmcnt(0)
	ds_store_b128 v76, v[1:4]
	ds_store_b128 v77, v[5:8] offset:4096
	ds_store_b128 v78, v[9:12] offset:8192
	v_lshrrev_b32_e32 v1, 1, v40
	v_and_b32_e32 v2, 0x3f0, v36
	v_lshrrev_b32_e32 v3, 1, v41
	v_and_b32_e32 v4, 0x3f0, v33
	v_add_nc_u32_e32 v79, v34, v75
	v_and_b32_e32 v1, 0x3f0, v1
	v_add_nc_u32_e32 v80, v2, v75
	v_and_b32_e32 v2, 0x3f0, v3
	v_lshrrev_b32_e32 v3, 2, v0
	v_add_nc_u32_e32 v81, v4, v75
	v_add_nc_u32_e32 v82, v1, v75
	v_lshlrev_b32_e32 v1, 3, v0
	v_add_nc_u32_e32 v83, v2, v75
	ds_store_b128 v79, v[13:16] offset:12288
	ds_store_b128 v80, v[17:20] offset:16384
	;; [unrolled: 1-line block ×4, first 2 shown]
	s_mov_b32 s10, exec_lo
	v_add_lshl_u32 v84, v3, v1, 4
	ds_store_b128 v83, v[29:32] offset:28672
	s_waitcnt lgkmcnt(0)
	s_barrier
	buffer_gl0_inv
	ds_load_b128 v[1:4], v84
	ds_load_b128 v[5:8], v84 offset:16
	ds_load_b128 v[45:48], v84 offset:32
	;; [unrolled: 1-line block ×7, first 2 shown]
	s_waitcnt lgkmcnt(0)
	s_barrier
	buffer_gl0_inv
	v_mul_f64 v[9:10], v[3:4], v[7:8]
	v_mul_f64 v[11:12], v[1:2], v[7:8]
	s_delay_alu instid0(VALU_DEP_2) | instskip(NEXT) | instid1(VALU_DEP_2)
	v_fma_f64 v[9:10], v[1:2], v[5:6], -v[9:10]
	v_fma_f64 v[11:12], v[3:4], v[5:6], v[11:12]
	s_delay_alu instid0(VALU_DEP_2) | instskip(NEXT) | instid1(VALU_DEP_2)
	v_mul_f64 v[13:14], v[9:10], v[47:48]
	v_mul_f64 v[17:18], v[11:12], v[47:48]
	s_delay_alu instid0(VALU_DEP_2) | instskip(NEXT) | instid1(VALU_DEP_2)
	v_fma_f64 v[15:16], v[45:46], v[11:12], v[13:14]
	v_fma_f64 v[13:14], v[45:46], v[9:10], -v[17:18]
	s_delay_alu instid0(VALU_DEP_2) | instskip(NEXT) | instid1(VALU_DEP_2)
	v_mul_f64 v[17:18], v[15:16], v[39:40]
	v_mul_f64 v[19:20], v[13:14], v[39:40]
	s_delay_alu instid0(VALU_DEP_2) | instskip(NEXT) | instid1(VALU_DEP_2)
	v_fma_f64 v[17:18], v[37:38], v[13:14], -v[17:18]
	v_fma_f64 v[19:20], v[37:38], v[15:16], v[19:20]
	s_delay_alu instid0(VALU_DEP_2) | instskip(NEXT) | instid1(VALU_DEP_2)
	v_mul_f64 v[21:22], v[17:18], v[55:56]
	v_mul_f64 v[25:26], v[19:20], v[55:56]
	s_delay_alu instid0(VALU_DEP_2) | instskip(NEXT) | instid1(VALU_DEP_2)
	v_fma_f64 v[23:24], v[53:54], v[19:20], v[21:22]
	v_fma_f64 v[21:22], v[53:54], v[17:18], -v[25:26]
	s_delay_alu instid0(VALU_DEP_2) | instskip(NEXT) | instid1(VALU_DEP_2)
	;; [unrolled: 12-line block ×3, first 2 shown]
	v_mul_f64 v[33:34], v[31:32], v[51:52]
	v_mul_f64 v[35:36], v[29:30], v[51:52]
	s_delay_alu instid0(VALU_DEP_2) | instskip(NEXT) | instid1(VALU_DEP_2)
	v_fma_f64 v[33:34], v[49:50], v[29:30], -v[33:34]
	v_fma_f64 v[35:36], v[49:50], v[31:32], v[35:36]
	s_delay_alu instid0(VALU_DEP_2) | instskip(SKIP_1) | instid1(VALU_DEP_3)
	v_mov_b32_e32 v68, v34
	v_mov_b32_e32 v62, v34
	;; [unrolled: 1-line block ×3, first 2 shown]
	v_mov_b32_dpp v69, v33 row_shr:1 row_mask:0xf bank_mask:0xf
	v_mov_b32_dpp v70, v34 row_shr:1 row_mask:0xf bank_mask:0xf
	;; [unrolled: 1-line block ×4, first 2 shown]
	v_mov_b32_e32 v61, v33
	v_dual_mov_b32 v63, v35 :: v_dual_mov_b32 v66, v36
	v_mov_b32_e32 v65, v35
	v_mov_b32_e32 v67, v33
	v_cmpx_ne_u32_e32 0, v73
; %bb.17:
	v_mul_f64 v[61:62], v[33:34], v[71:72]
	v_mul_f64 v[65:66], v[35:36], v[71:72]
	s_delay_alu instid0(VALU_DEP_2) | instskip(NEXT) | instid1(VALU_DEP_2)
	v_fma_f64 v[63:64], v[35:36], v[69:70], v[61:62]
	v_fma_f64 v[61:62], v[33:34], v[69:70], -v[65:66]
	s_delay_alu instid0(VALU_DEP_2) | instskip(NEXT) | instid1(VALU_DEP_2)
	v_dual_mov_b32 v66, v64 :: v_dual_mov_b32 v65, v63
	v_dual_mov_b32 v68, v62 :: v_dual_mov_b32 v67, v61
; %bb.18:
	s_or_b32 exec_lo, exec_lo, s10
	s_delay_alu instid0(VALU_DEP_1) | instskip(NEXT) | instid1(VALU_DEP_2)
	v_mov_b32_dpp v69, v67 row_shr:2 row_mask:0xf bank_mask:0xf
	v_mov_b32_dpp v70, v68 row_shr:2 row_mask:0xf bank_mask:0xf
	v_mov_b32_dpp v71, v65 row_shr:2 row_mask:0xf bank_mask:0xf
	v_mov_b32_dpp v72, v66 row_shr:2 row_mask:0xf bank_mask:0xf
	s_mov_b32 s10, exec_lo
	v_cmpx_lt_u32_e32 1, v73
; %bb.19:
	s_delay_alu instid0(VALU_DEP_2) | instskip(SKIP_1) | instid1(VALU_DEP_2)
	v_mul_f64 v[65:66], v[61:62], v[71:72]
	v_mul_f64 v[67:68], v[63:64], v[71:72]
	v_fma_f64 v[65:66], v[63:64], v[69:70], v[65:66]
	s_delay_alu instid0(VALU_DEP_2) | instskip(NEXT) | instid1(VALU_DEP_2)
	v_fma_f64 v[67:68], v[61:62], v[69:70], -v[67:68]
	v_dual_mov_b32 v63, v65 :: v_dual_mov_b32 v64, v66
	s_delay_alu instid0(VALU_DEP_2)
	v_dual_mov_b32 v61, v67 :: v_dual_mov_b32 v62, v68
; %bb.20:
	s_or_b32 exec_lo, exec_lo, s10
	v_mov_b32_dpp v69, v67 row_shr:4 row_mask:0xf bank_mask:0xf
	v_mov_b32_dpp v70, v68 row_shr:4 row_mask:0xf bank_mask:0xf
	v_mov_b32_dpp v71, v65 row_shr:4 row_mask:0xf bank_mask:0xf
	v_mov_b32_dpp v72, v66 row_shr:4 row_mask:0xf bank_mask:0xf
	s_mov_b32 s10, exec_lo
	v_cmpx_lt_u32_e32 3, v73
; %bb.21:
	s_delay_alu instid0(VALU_DEP_2) | instskip(SKIP_1) | instid1(VALU_DEP_2)
	v_mul_f64 v[65:66], v[61:62], v[71:72]
	v_mul_f64 v[67:68], v[63:64], v[71:72]
	v_fma_f64 v[65:66], v[63:64], v[69:70], v[65:66]
	s_delay_alu instid0(VALU_DEP_2) | instskip(NEXT) | instid1(VALU_DEP_2)
	v_fma_f64 v[67:68], v[61:62], v[69:70], -v[67:68]
	v_dual_mov_b32 v63, v65 :: v_dual_mov_b32 v64, v66
	s_delay_alu instid0(VALU_DEP_2)
	v_dual_mov_b32 v61, v67 :: v_dual_mov_b32 v62, v68
; %bb.22:
	s_or_b32 exec_lo, exec_lo, s10
	;; [unrolled: 18-line block ×3, first 2 shown]
	ds_swizzle_b32 v67, v67 offset:swizzle(BROADCAST,32,15)
	ds_swizzle_b32 v68, v68 offset:swizzle(BROADCAST,32,15)
	;; [unrolled: 1-line block ×4, first 2 shown]
	v_and_b32_e32 v69, 16, v86
	s_mov_b32 s10, exec_lo
	s_delay_alu instid0(VALU_DEP_1)
	v_cmpx_ne_u32_e32 0, v69
	s_cbranch_execz .LBB68_26
; %bb.25:
	s_waitcnt lgkmcnt(0)
	v_mul_f64 v[69:70], v[61:62], v[65:66]
	v_mul_f64 v[65:66], v[63:64], v[65:66]
	s_delay_alu instid0(VALU_DEP_2) | instskip(NEXT) | instid1(VALU_DEP_2)
	v_fma_f64 v[63:64], v[63:64], v[67:68], v[69:70]
	v_fma_f64 v[61:62], v[61:62], v[67:68], -v[65:66]
.LBB68_26:
	s_or_b32 exec_lo, exec_lo, s10
	s_waitcnt lgkmcnt(1)
	v_or_b32_e32 v65, 31, v0
	s_mov_b32 s10, exec_lo
	s_delay_alu instid0(VALU_DEP_1)
	v_cmpx_eq_u32_e64 v65, v0
	s_cbranch_execz .LBB68_28
; %bb.27:
	ds_store_b128 v85, v[61:64]
.LBB68_28:
	s_or_b32 exec_lo, exec_lo, s10
	s_delay_alu instid0(SALU_CYCLE_1)
	s_mov_b32 s10, exec_lo
	s_waitcnt lgkmcnt(0)
	s_barrier
	buffer_gl0_inv
	v_cmpx_gt_u32_e32 8, v0
	s_cbranch_execz .LBB68_36
; %bb.29:
	ds_load_b128 v[65:68], v75
	v_and_b32_e32 v87, 7, v86
	s_mov_b32 s11, exec_lo
	s_waitcnt lgkmcnt(0)
	v_mov_b32_e32 v70, v68
	v_mov_b32_dpp v71, v65 row_shr:1 row_mask:0xf bank_mask:0xf
	v_mov_b32_dpp v72, v66 row_shr:1 row_mask:0xf bank_mask:0xf
	;; [unrolled: 1-line block ×4, first 2 shown]
	v_mov_b32_e32 v69, v67
	v_cmpx_ne_u32_e32 0, v87
; %bb.30:
	s_delay_alu instid0(VALU_DEP_3) | instskip(SKIP_1) | instid1(VALU_DEP_2)
	v_mul_f64 v[69:70], v[65:66], v[73:74]
	v_mul_f64 v[73:74], v[67:68], v[73:74]
	v_fma_f64 v[69:70], v[67:68], v[71:72], v[69:70]
	s_delay_alu instid0(VALU_DEP_2) | instskip(NEXT) | instid1(VALU_DEP_2)
	v_fma_f64 v[65:66], v[65:66], v[71:72], -v[73:74]
	v_dual_mov_b32 v67, v69 :: v_dual_mov_b32 v68, v70
; %bb.31:
	s_or_b32 exec_lo, exec_lo, s11
	s_delay_alu instid0(VALU_DEP_2) | instskip(NEXT) | instid1(VALU_DEP_3)
	v_mov_b32_dpp v71, v65 row_shr:2 row_mask:0xf bank_mask:0xf
	v_mov_b32_dpp v72, v66 row_shr:2 row_mask:0xf bank_mask:0xf
	;; [unrolled: 1-line block ×4, first 2 shown]
	s_mov_b32 s11, exec_lo
	v_cmpx_lt_u32_e32 1, v87
; %bb.32:
	s_delay_alu instid0(VALU_DEP_2) | instskip(SKIP_1) | instid1(VALU_DEP_2)
	v_mul_f64 v[69:70], v[65:66], v[73:74]
	v_mul_f64 v[73:74], v[67:68], v[73:74]
	v_fma_f64 v[69:70], v[67:68], v[71:72], v[69:70]
	s_delay_alu instid0(VALU_DEP_2) | instskip(NEXT) | instid1(VALU_DEP_2)
	v_fma_f64 v[65:66], v[65:66], v[71:72], -v[73:74]
	v_dual_mov_b32 v67, v69 :: v_dual_mov_b32 v68, v70
; %bb.33:
	s_or_b32 exec_lo, exec_lo, s11
	s_delay_alu instid0(VALU_DEP_2) | instskip(NEXT) | instid1(VALU_DEP_3)
	v_mov_b32_dpp v71, v65 row_shr:4 row_mask:0xf bank_mask:0xf
	v_mov_b32_dpp v72, v66 row_shr:4 row_mask:0xf bank_mask:0xf
	;; [unrolled: 1-line block ×4, first 2 shown]
	s_mov_b32 s11, exec_lo
	v_cmpx_lt_u32_e32 3, v87
; %bb.34:
	s_delay_alu instid0(VALU_DEP_2) | instskip(SKIP_1) | instid1(VALU_DEP_2)
	v_mul_f64 v[73:74], v[65:66], v[69:70]
	v_mul_f64 v[69:70], v[67:68], v[69:70]
	v_fma_f64 v[67:68], v[67:68], v[71:72], v[73:74]
	s_delay_alu instid0(VALU_DEP_2)
	v_fma_f64 v[65:66], v[65:66], v[71:72], -v[69:70]
; %bb.35:
	s_or_b32 exec_lo, exec_lo, s11
	ds_store_b128 v75, v[65:68]
.LBB68_36:
	s_or_b32 exec_lo, exec_lo, s10
	v_mov_b32_e32 v67, 0
	v_mov_b32_e32 v68, 0
	s_delay_alu instid0(VALU_DEP_2)
	v_mov_b32_e32 v65, v67
	s_mov_b32 s10, exec_lo
	s_waitcnt lgkmcnt(0)
	s_barrier
	v_mov_b32_e32 v66, v68
	buffer_gl0_inv
	v_cmpx_lt_u32_e32 31, v0
	s_cbranch_execz .LBB68_38
; %bb.37:
	v_add_nc_u32_e32 v65, -16, v85
	ds_load_b128 v[65:68], v65
	s_waitcnt lgkmcnt(0)
	v_mul_f64 v[69:70], v[63:64], v[67:68]
	v_mul_f64 v[71:72], v[61:62], v[67:68]
	s_delay_alu instid0(VALU_DEP_2) | instskip(NEXT) | instid1(VALU_DEP_2)
	v_fma_f64 v[61:62], v[61:62], v[65:66], -v[69:70]
	v_fma_f64 v[63:64], v[63:64], v[65:66], v[71:72]
.LBB68_38:
	s_or_b32 exec_lo, exec_lo, s10
	v_add_nc_u32_e32 v69, -1, v86
	s_mov_b32 s10, exec_lo
	s_delay_alu instid0(VALU_DEP_1) | instskip(NEXT) | instid1(VALU_DEP_1)
	v_cmp_gt_i32_e64 s9, 0, v69
	v_cndmask_b32_e64 v69, v69, v86, s9
	s_delay_alu instid0(VALU_DEP_1)
	v_lshlrev_b32_e32 v69, 2, v69
	ds_bpermute_b32 v61, v69, v61
	ds_bpermute_b32 v62, v69, v62
	;; [unrolled: 1-line block ×4, first 2 shown]
	v_cmpx_ne_u32_e32 0, v0
	s_cbranch_execz .LBB68_40
; %bb.39:
	v_cmp_eq_u32_e64 s9, 0, v86
	s_waitcnt lgkmcnt(0)
	s_delay_alu instid0(VALU_DEP_1) | instskip(SKIP_3) | instid1(VALU_DEP_3)
	v_cndmask_b32_e64 v10, v64, v68, s9
	v_cndmask_b32_e64 v9, v63, v67, s9
	;; [unrolled: 1-line block ×4, first 2 shown]
	v_mul_f64 v[11:12], v[1:2], v[9:10]
	v_mul_f64 v[9:10], v[3:4], v[9:10]
	s_delay_alu instid0(VALU_DEP_2) | instskip(NEXT) | instid1(VALU_DEP_2)
	v_fma_f64 v[3:4], v[3:4], v[13:14], v[11:12]
	v_fma_f64 v[0:1], v[1:2], v[13:14], -v[9:10]
	s_delay_alu instid0(VALU_DEP_2) | instskip(NEXT) | instid1(VALU_DEP_2)
	v_mul_f64 v[9:10], v[7:8], v[3:4]
	v_mul_f64 v[7:8], v[7:8], v[0:1]
	s_delay_alu instid0(VALU_DEP_2) | instskip(NEXT) | instid1(VALU_DEP_2)
	v_fma_f64 v[9:10], v[5:6], v[0:1], -v[9:10]
	v_fma_f64 v[11:12], v[5:6], v[3:4], v[7:8]
	v_mov_b32_e32 v2, v1
	v_mov_b32_e32 v1, v0
	s_delay_alu instid0(VALU_DEP_4) | instskip(NEXT) | instid1(VALU_DEP_4)
	v_mul_f64 v[5:6], v[47:48], v[9:10]
	v_mul_f64 v[7:8], v[47:48], v[11:12]
	s_delay_alu instid0(VALU_DEP_2) | instskip(NEXT) | instid1(VALU_DEP_2)
	v_fma_f64 v[15:16], v[45:46], v[11:12], v[5:6]
	v_fma_f64 v[13:14], v[45:46], v[9:10], -v[7:8]
	s_delay_alu instid0(VALU_DEP_2) | instskip(NEXT) | instid1(VALU_DEP_2)
	v_mul_f64 v[5:6], v[39:40], v[15:16]
	v_mul_f64 v[7:8], v[39:40], v[13:14]
	s_delay_alu instid0(VALU_DEP_2) | instskip(NEXT) | instid1(VALU_DEP_2)
	v_fma_f64 v[17:18], v[37:38], v[13:14], -v[5:6]
	v_fma_f64 v[19:20], v[37:38], v[15:16], v[7:8]
	s_delay_alu instid0(VALU_DEP_2) | instskip(NEXT) | instid1(VALU_DEP_2)
	v_mul_f64 v[5:6], v[55:56], v[17:18]
	v_mul_f64 v[7:8], v[55:56], v[19:20]
	s_delay_alu instid0(VALU_DEP_2) | instskip(NEXT) | instid1(VALU_DEP_2)
	v_fma_f64 v[23:24], v[53:54], v[19:20], v[5:6]
	v_fma_f64 v[21:22], v[53:54], v[17:18], -v[7:8]
	s_delay_alu instid0(VALU_DEP_2) | instskip(NEXT) | instid1(VALU_DEP_2)
	v_mul_f64 v[5:6], v[43:44], v[23:24]
	v_mul_f64 v[7:8], v[43:44], v[21:22]
	s_delay_alu instid0(VALU_DEP_2) | instskip(NEXT) | instid1(VALU_DEP_2)
	v_fma_f64 v[25:26], v[41:42], v[21:22], -v[5:6]
	v_fma_f64 v[27:28], v[41:42], v[23:24], v[7:8]
	s_delay_alu instid0(VALU_DEP_2) | instskip(NEXT) | instid1(VALU_DEP_2)
	v_mul_f64 v[5:6], v[59:60], v[25:26]
	v_mul_f64 v[7:8], v[59:60], v[27:28]
	s_delay_alu instid0(VALU_DEP_2) | instskip(NEXT) | instid1(VALU_DEP_2)
	v_fma_f64 v[31:32], v[57:58], v[27:28], v[5:6]
	v_fma_f64 v[29:30], v[57:58], v[25:26], -v[7:8]
	s_delay_alu instid0(VALU_DEP_2) | instskip(NEXT) | instid1(VALU_DEP_2)
	v_mul_f64 v[5:6], v[51:52], v[31:32]
	v_mul_f64 v[7:8], v[51:52], v[29:30]
	s_delay_alu instid0(VALU_DEP_2) | instskip(NEXT) | instid1(VALU_DEP_2)
	v_fma_f64 v[33:34], v[49:50], v[29:30], -v[5:6]
	v_fma_f64 v[35:36], v[49:50], v[31:32], v[7:8]
.LBB68_40:
	s_or_b32 exec_lo, exec_lo, s10
	s_load_b64 s[0:1], s[0:1], 0x20
	s_waitcnt lgkmcnt(0)
	s_barrier
	buffer_gl0_inv
	ds_store_b128 v84, v[1:4]
	ds_store_b128 v84, v[9:12] offset:16
	ds_store_b128 v84, v[13:16] offset:32
	;; [unrolled: 1-line block ×7, first 2 shown]
	s_waitcnt lgkmcnt(0)
	s_barrier
	buffer_gl0_inv
	ds_load_b128 v[24:27], v77 offset:4096
	ds_load_b128 v[20:23], v78 offset:8192
	;; [unrolled: 1-line block ×7, first 2 shown]
	v_add_co_u32 v28, s0, s0, v75
	s_delay_alu instid0(VALU_DEP_1)
	v_add_co_ci_u32_e64 v29, null, s1, 0, s0
	s_and_saveexec_b32 s0, vcc_lo
	s_cbranch_execnz .LBB68_49
; %bb.41:
	s_or_b32 exec_lo, exec_lo, s0
	s_and_saveexec_b32 s0, s2
	s_cbranch_execnz .LBB68_50
.LBB68_42:
	s_or_b32 exec_lo, exec_lo, s0
	s_and_saveexec_b32 s0, s3
	s_cbranch_execnz .LBB68_51
.LBB68_43:
	s_or_b32 exec_lo, exec_lo, s0
	s_and_saveexec_b32 s0, s4
	s_cbranch_execnz .LBB68_52
.LBB68_44:
	s_or_b32 exec_lo, exec_lo, s0
	s_and_saveexec_b32 s0, s5
	s_cbranch_execnz .LBB68_53
.LBB68_45:
	s_or_b32 exec_lo, exec_lo, s0
	s_and_saveexec_b32 s0, s6
	s_cbranch_execnz .LBB68_54
.LBB68_46:
	s_or_b32 exec_lo, exec_lo, s0
	s_and_saveexec_b32 s0, s7
	s_cbranch_execnz .LBB68_55
.LBB68_47:
	s_or_b32 exec_lo, exec_lo, s0
	s_and_saveexec_b32 s0, s8
	s_cbranch_execnz .LBB68_56
.LBB68_48:
	s_nop 0
	s_sendmsg sendmsg(MSG_DEALLOC_VGPRS)
	s_endpgm
.LBB68_49:
	ds_load_b128 v[30:33], v76
	s_waitcnt lgkmcnt(0)
	global_store_b128 v[28:29], v[30:33], off
	s_or_b32 exec_lo, exec_lo, s0
	s_and_saveexec_b32 s0, s2
	s_cbranch_execz .LBB68_42
.LBB68_50:
	v_add_co_u32 v30, vcc_lo, 0x1000, v28
	v_add_co_ci_u32_e32 v31, vcc_lo, 0, v29, vcc_lo
	s_waitcnt lgkmcnt(6)
	global_store_b128 v[30:31], v[24:27], off
	s_or_b32 exec_lo, exec_lo, s0
	s_and_saveexec_b32 s0, s3
	s_cbranch_execz .LBB68_43
.LBB68_51:
	s_waitcnt lgkmcnt(6)
	v_add_co_u32 v24, vcc_lo, 0x2000, v28
	v_add_co_ci_u32_e32 v25, vcc_lo, 0, v29, vcc_lo
	s_waitcnt lgkmcnt(5)
	global_store_b128 v[24:25], v[20:23], off
	s_or_b32 exec_lo, exec_lo, s0
	s_and_saveexec_b32 s0, s4
	s_cbranch_execz .LBB68_44
.LBB68_52:
	s_waitcnt lgkmcnt(5)
	v_add_co_u32 v20, vcc_lo, 0x3000, v28
	v_add_co_ci_u32_e32 v21, vcc_lo, 0, v29, vcc_lo
	s_waitcnt lgkmcnt(4)
	global_store_b128 v[20:21], v[16:19], off
	s_or_b32 exec_lo, exec_lo, s0
	s_and_saveexec_b32 s0, s5
	s_cbranch_execz .LBB68_45
.LBB68_53:
	s_waitcnt lgkmcnt(4)
	v_add_co_u32 v16, vcc_lo, 0x4000, v28
	v_add_co_ci_u32_e32 v17, vcc_lo, 0, v29, vcc_lo
	s_waitcnt lgkmcnt(3)
	global_store_b128 v[16:17], v[12:15], off
	s_or_b32 exec_lo, exec_lo, s0
	s_and_saveexec_b32 s0, s6
	s_cbranch_execz .LBB68_46
.LBB68_54:
	s_waitcnt lgkmcnt(3)
	v_add_co_u32 v12, vcc_lo, 0x5000, v28
	v_add_co_ci_u32_e32 v13, vcc_lo, 0, v29, vcc_lo
	s_waitcnt lgkmcnt(2)
	global_store_b128 v[12:13], v[8:11], off
	s_or_b32 exec_lo, exec_lo, s0
	s_and_saveexec_b32 s0, s7
	s_cbranch_execz .LBB68_47
.LBB68_55:
	s_waitcnt lgkmcnt(2)
	v_add_co_u32 v8, vcc_lo, 0x6000, v28
	v_add_co_ci_u32_e32 v9, vcc_lo, 0, v29, vcc_lo
	s_waitcnt lgkmcnt(1)
	global_store_b128 v[8:9], v[4:7], off
	s_or_b32 exec_lo, exec_lo, s0
	s_and_saveexec_b32 s0, s8
	s_cbranch_execz .LBB68_48
.LBB68_56:
	s_waitcnt lgkmcnt(1)
	v_add_co_u32 v4, vcc_lo, 0x7000, v28
	v_add_co_ci_u32_e32 v5, vcc_lo, 0, v29, vcc_lo
	s_waitcnt lgkmcnt(0)
	global_store_b128 v[4:5], v[0:3], off
	s_nop 0
	s_sendmsg sendmsg(MSG_DEALLOC_VGPRS)
	s_endpgm
	.section	.rodata,"a",@progbits
	.p2align	6, 0x0
	.amdhsa_kernel _ZN7rocprim17ROCPRIM_304000_NS6detail18single_scan_kernelILb0ENS1_19wrapped_scan_configINS0_14default_configEN3c107complexIdEEEEPKS7_PS7_St10multipliesIS7_ES7_S7_EEvT1_mT4_T2_T3_
		.amdhsa_group_segment_fixed_size 33792
		.amdhsa_private_segment_fixed_size 0
		.amdhsa_kernarg_size 44
		.amdhsa_user_sgpr_count 15
		.amdhsa_user_sgpr_dispatch_ptr 0
		.amdhsa_user_sgpr_queue_ptr 0
		.amdhsa_user_sgpr_kernarg_segment_ptr 1
		.amdhsa_user_sgpr_dispatch_id 0
		.amdhsa_user_sgpr_private_segment_size 0
		.amdhsa_wavefront_size32 1
		.amdhsa_uses_dynamic_stack 0
		.amdhsa_enable_private_segment 0
		.amdhsa_system_sgpr_workgroup_id_x 1
		.amdhsa_system_sgpr_workgroup_id_y 0
		.amdhsa_system_sgpr_workgroup_id_z 0
		.amdhsa_system_sgpr_workgroup_info 0
		.amdhsa_system_vgpr_workitem_id 0
		.amdhsa_next_free_vgpr 88
		.amdhsa_next_free_sgpr 16
		.amdhsa_reserve_vcc 1
		.amdhsa_float_round_mode_32 0
		.amdhsa_float_round_mode_16_64 0
		.amdhsa_float_denorm_mode_32 3
		.amdhsa_float_denorm_mode_16_64 3
		.amdhsa_dx10_clamp 1
		.amdhsa_ieee_mode 1
		.amdhsa_fp16_overflow 0
		.amdhsa_workgroup_processor_mode 1
		.amdhsa_memory_ordered 1
		.amdhsa_forward_progress 0
		.amdhsa_shared_vgpr_count 0
		.amdhsa_exception_fp_ieee_invalid_op 0
		.amdhsa_exception_fp_denorm_src 0
		.amdhsa_exception_fp_ieee_div_zero 0
		.amdhsa_exception_fp_ieee_overflow 0
		.amdhsa_exception_fp_ieee_underflow 0
		.amdhsa_exception_fp_ieee_inexact 0
		.amdhsa_exception_int_div_zero 0
	.end_amdhsa_kernel
	.section	.text._ZN7rocprim17ROCPRIM_304000_NS6detail18single_scan_kernelILb0ENS1_19wrapped_scan_configINS0_14default_configEN3c107complexIdEEEEPKS7_PS7_St10multipliesIS7_ES7_S7_EEvT1_mT4_T2_T3_,"axG",@progbits,_ZN7rocprim17ROCPRIM_304000_NS6detail18single_scan_kernelILb0ENS1_19wrapped_scan_configINS0_14default_configEN3c107complexIdEEEEPKS7_PS7_St10multipliesIS7_ES7_S7_EEvT1_mT4_T2_T3_,comdat
.Lfunc_end68:
	.size	_ZN7rocprim17ROCPRIM_304000_NS6detail18single_scan_kernelILb0ENS1_19wrapped_scan_configINS0_14default_configEN3c107complexIdEEEEPKS7_PS7_St10multipliesIS7_ES7_S7_EEvT1_mT4_T2_T3_, .Lfunc_end68-_ZN7rocprim17ROCPRIM_304000_NS6detail18single_scan_kernelILb0ENS1_19wrapped_scan_configINS0_14default_configEN3c107complexIdEEEEPKS7_PS7_St10multipliesIS7_ES7_S7_EEvT1_mT4_T2_T3_
                                        ; -- End function
	.section	.AMDGPU.csdata,"",@progbits
; Kernel info:
; codeLenInByte = 3352
; NumSgprs: 18
; NumVgprs: 88
; ScratchSize: 0
; MemoryBound: 1
; FloatMode: 240
; IeeeMode: 1
; LDSByteSize: 33792 bytes/workgroup (compile time only)
; SGPRBlocks: 2
; VGPRBlocks: 10
; NumSGPRsForWavesPerEU: 18
; NumVGPRsForWavesPerEU: 88
; Occupancy: 6
; WaveLimiterHint : 0
; COMPUTE_PGM_RSRC2:SCRATCH_EN: 0
; COMPUTE_PGM_RSRC2:USER_SGPR: 15
; COMPUTE_PGM_RSRC2:TRAP_HANDLER: 0
; COMPUTE_PGM_RSRC2:TGID_X_EN: 1
; COMPUTE_PGM_RSRC2:TGID_Y_EN: 0
; COMPUTE_PGM_RSRC2:TGID_Z_EN: 0
; COMPUTE_PGM_RSRC2:TIDIG_COMP_CNT: 0
	.section	.text._ZN2at6native32tensor_kernel_scan_innermost_dimIN3c107complexIdEESt10multipliesIS4_EEEvPT_PKS7_jjjS7_T0_,"axG",@progbits,_ZN2at6native32tensor_kernel_scan_innermost_dimIN3c107complexIdEESt10multipliesIS4_EEEvPT_PKS7_jjjS7_T0_,comdat
	.protected	_ZN2at6native32tensor_kernel_scan_innermost_dimIN3c107complexIdEESt10multipliesIS4_EEEvPT_PKS7_jjjS7_T0_ ; -- Begin function _ZN2at6native32tensor_kernel_scan_innermost_dimIN3c107complexIdEESt10multipliesIS4_EEEvPT_PKS7_jjjS7_T0_
	.globl	_ZN2at6native32tensor_kernel_scan_innermost_dimIN3c107complexIdEESt10multipliesIS4_EEEvPT_PKS7_jjjS7_T0_
	.p2align	8
	.type	_ZN2at6native32tensor_kernel_scan_innermost_dimIN3c107complexIdEESt10multipliesIS4_EEEvPT_PKS7_jjjS7_T0_,@function
_ZN2at6native32tensor_kernel_scan_innermost_dimIN3c107complexIdEESt10multipliesIS4_EEEvPT_PKS7_jjjS7_T0_: ; @_ZN2at6native32tensor_kernel_scan_innermost_dimIN3c107complexIdEESt10multipliesIS4_EEEvPT_PKS7_jjjS7_T0_
; %bb.0:
	s_clause 0x1
	s_load_b256 s[16:23], s[0:1], 0x0
	s_load_b128 s[8:11], s[0:1], 0x20
	v_bfe_u32 v10, v0, 10, 10
	s_waitcnt lgkmcnt(0)
	s_lshl_b32 s5, 2, s22
	s_mul_hi_u32 s2, s20, s21
	s_delay_alu instid0(VALU_DEP_1) | instskip(SKIP_3) | instid1(VALU_DEP_1)
	v_mul_lo_u32 v1, s5, v10
	s_mov_b32 s6, s20
	s_cmp_lg_u32 s2, 0
	s_mov_b32 s2, -1
	v_lshl_add_u32 v11, v1, 4, 0
	s_cbranch_scc1 .LBB69_30
; %bb.1:
	s_load_b32 s4, s[0:1], 0x44
	s_add_u32 s2, s0, 56
	s_addc_u32 s3, s1, 0
	s_waitcnt lgkmcnt(0)
	s_lshr_b32 s4, s4, 16
	s_delay_alu instid0(SALU_CYCLE_1) | instskip(NEXT) | instid1(SALU_CYCLE_1)
	s_mul_i32 s7, s15, s4
	s_cmp_ge_u32 s7, s20
	s_cbranch_scc1 .LBB69_29
; %bb.2:
	s_load_b32 s14, s[2:3], 0x0
	v_dual_mov_b32 v6, 0 :: v_dual_and_b32 v9, 0x3ff, v0
	s_lshl_b32 s12, 1, s22
	s_cmp_lg_u32 s21, 0
	s_delay_alu instid0(VALU_DEP_1)
	v_lshl_add_u32 v12, v9, 4, v11
	s_cselect_b32 s13, -1, 0
	s_lshl_b32 s3, s5, 4
	v_cmp_eq_u32_e64 s2, 0, v9
	v_add3_u32 v13, v11, s3, -16
	v_lshl_add_u32 v14, s12, 4, v12
	s_add_i32 s23, s22, 1
	s_waitcnt lgkmcnt(0)
	s_mul_i32 s14, s14, s4
	s_branch .LBB69_4
.LBB69_3:                               ;   in Loop: Header=BB69_4 Depth=1
	s_add_i32 s7, s7, s14
	s_delay_alu instid0(SALU_CYCLE_1)
	s_cmp_ge_u32 s7, s20
	s_cbranch_scc1 .LBB69_29
.LBB69_4:                               ; =>This Loop Header: Depth=1
                                        ;     Child Loop BB69_7 Depth 2
                                        ;       Child Loop BB69_18 Depth 3
	s_and_not1_b32 vcc_lo, exec_lo, s13
	s_cbranch_vccnz .LBB69_3
; %bb.5:                                ;   in Loop: Header=BB69_4 Depth=1
	v_add_nc_u32_e32 v7, s7, v10
	v_dual_mov_b32 v1, s8 :: v_dual_mov_b32 v2, s9
	s_mov_b32 s24, 0
	s_delay_alu instid0(VALU_DEP_2) | instskip(SKIP_2) | instid1(VALU_DEP_3)
	v_mul_lo_u32 v5, v7, s21
	v_cmp_gt_u32_e32 vcc_lo, s20, v7
	v_cmp_le_u32_e64 s3, s20, v7
	v_lshlrev_b64 v[3:4], 4, v[5:6]
	s_delay_alu instid0(VALU_DEP_1) | instskip(NEXT) | instid1(VALU_DEP_1)
	v_add_co_u32 v15, s4, s18, v3
	v_add_co_ci_u32_e64 v16, s4, s19, v4, s4
	v_add_co_u32 v17, s4, s16, v3
	s_delay_alu instid0(VALU_DEP_1)
	v_add_co_ci_u32_e64 v18, s4, s17, v4, s4
	v_dual_mov_b32 v3, s10 :: v_dual_mov_b32 v4, s11
	s_branch .LBB69_7
.LBB69_6:                               ;   in Loop: Header=BB69_7 Depth=2
	s_or_b32 exec_lo, exec_lo, s25
	ds_load_b128 v[1:4], v13
	s_add_i32 s24, s24, s5
	s_waitcnt lgkmcnt(0)
	s_waitcnt_vscnt null, 0x0
	s_cmp_ge_u32 s24, s21
	s_barrier
	buffer_gl0_inv
	s_cbranch_scc1 .LBB69_3
.LBB69_7:                               ;   Parent Loop BB69_4 Depth=1
                                        ; =>  This Loop Header: Depth=2
                                        ;       Child Loop BB69_18 Depth 3
	v_add_nc_u32_e32 v5, s24, v9
	s_delay_alu instid0(VALU_DEP_1)
	v_add_nc_u32_e32 v7, s12, v5
	s_and_saveexec_b32 s25, vcc_lo
	s_cbranch_execz .LBB69_16
; %bb.8:                                ;   in Loop: Header=BB69_7 Depth=2
	v_cmp_le_u32_e64 s4, s21, v5
	s_delay_alu instid0(VALU_DEP_1) | instskip(NEXT) | instid1(SALU_CYCLE_1)
	s_and_saveexec_b32 s26, s4
	s_xor_b32 s4, exec_lo, s26
	s_cbranch_execz .LBB69_10
; %bb.9:                                ;   in Loop: Header=BB69_7 Depth=2
	v_dual_mov_b32 v19, s8 :: v_dual_mov_b32 v20, s9
	v_dual_mov_b32 v21, s10 :: v_dual_mov_b32 v22, s11
	ds_store_b128 v12, v[19:22]
.LBB69_10:                              ;   in Loop: Header=BB69_7 Depth=2
	s_and_not1_saveexec_b32 s26, s4
	s_cbranch_execz .LBB69_12
; %bb.11:                               ;   in Loop: Header=BB69_7 Depth=2
	v_lshlrev_b64 v[19:20], 4, v[5:6]
	s_delay_alu instid0(VALU_DEP_1) | instskip(NEXT) | instid1(VALU_DEP_1)
	v_add_co_u32 v19, s4, v15, v19
	v_add_co_ci_u32_e64 v20, s4, v16, v20, s4
	global_load_b128 v[19:22], v[19:20], off
	s_waitcnt vmcnt(0)
	ds_store_b128 v12, v[19:22]
.LBB69_12:                              ;   in Loop: Header=BB69_7 Depth=2
	s_or_b32 exec_lo, exec_lo, s26
	v_cmp_le_u32_e64 s4, s21, v7
	s_delay_alu instid0(VALU_DEP_1) | instskip(NEXT) | instid1(SALU_CYCLE_1)
	s_and_saveexec_b32 s26, s4
	s_xor_b32 s4, exec_lo, s26
	s_cbranch_execnz .LBB69_27
; %bb.13:                               ;   in Loop: Header=BB69_7 Depth=2
	s_and_not1_saveexec_b32 s26, s4
	s_cbranch_execnz .LBB69_28
.LBB69_14:                              ;   in Loop: Header=BB69_7 Depth=2
	s_or_b32 exec_lo, exec_lo, s26
	s_delay_alu instid0(SALU_CYCLE_1)
	s_and_b32 exec_lo, exec_lo, s2
	s_cbranch_execz .LBB69_16
.LBB69_15:                              ;   in Loop: Header=BB69_7 Depth=2
	ds_load_b128 v[19:22], v11
	s_waitcnt lgkmcnt(0)
	v_mul_f64 v[23:24], v[3:4], v[21:22]
	v_mul_f64 v[21:22], v[1:2], v[21:22]
	s_delay_alu instid0(VALU_DEP_2) | instskip(NEXT) | instid1(VALU_DEP_2)
	v_fma_f64 v[1:2], v[1:2], v[19:20], -v[23:24]
	v_fma_f64 v[3:4], v[3:4], v[19:20], v[21:22]
	ds_store_b128 v11, v[1:4]
.LBB69_16:                              ;   in Loop: Header=BB69_7 Depth=2
	s_or_b32 exec_lo, exec_lo, s25
	v_mov_b32_e32 v2, 0
	s_mov_b32 s25, 0
	s_waitcnt lgkmcnt(0)
	s_barrier
	buffer_gl0_inv
	s_set_inst_prefetch_distance 0x1
	s_branch .LBB69_18
	.p2align	6
.LBB69_17:                              ;   in Loop: Header=BB69_18 Depth=3
	s_or_b32 exec_lo, exec_lo, s4
	s_delay_alu instid0(VALU_DEP_1) | instskip(SKIP_4) | instid1(SALU_CYCLE_1)
	v_cmp_eq_u32_e64 s4, s23, v2
	s_waitcnt lgkmcnt(0)
	s_barrier
	buffer_gl0_inv
	s_or_b32 s25, s4, s25
	s_and_not1_b32 exec_lo, exec_lo, s25
	s_cbranch_execz .LBB69_22
.LBB69_18:                              ;   Parent Loop BB69_4 Depth=1
                                        ;     Parent Loop BB69_7 Depth=2
                                        ; =>    This Inner Loop Header: Depth=3
	v_add_nc_u32_e32 v1, 1, v2
	s_and_saveexec_b32 s4, s3
	s_delay_alu instid0(SALU_CYCLE_1)
	s_xor_b32 s4, exec_lo, s4
; %bb.19:                               ;   in Loop: Header=BB69_18 Depth=3
	v_add_nc_u32_e32 v2, 1, v2
                                        ; implicit-def: $vgpr1
; %bb.20:                               ;   in Loop: Header=BB69_18 Depth=3
	s_and_not1_saveexec_b32 s4, s4
	s_cbranch_execz .LBB69_17
; %bb.21:                               ;   in Loop: Header=BB69_18 Depth=3
	s_delay_alu instid0(VALU_DEP_1) | instskip(SKIP_2) | instid1(VALU_DEP_2)
	v_lshlrev_b32_e64 v3, v2, 1
	v_lshrrev_b32_e32 v4, v2, v9
	v_bfm_b32 v2, v2, 0
	v_lshl_or_b32 v3, v4, v1, v3
	s_delay_alu instid0(VALU_DEP_2) | instskip(NEXT) | instid1(VALU_DEP_2)
	v_and_b32_e32 v2, v2, v9
	v_lshl_add_u32 v3, v3, 4, v11
	s_delay_alu instid0(VALU_DEP_1)
	v_lshl_add_u32 v4, v2, 4, v3
	v_add_nc_u32_e32 v2, -16, v3
	ds_load_b128 v[19:22], v4
	ds_load_b128 v[23:26], v2
	s_waitcnt lgkmcnt(0)
	v_mul_f64 v[2:3], v[21:22], v[25:26]
	v_mul_f64 v[25:26], v[19:20], v[25:26]
	s_delay_alu instid0(VALU_DEP_2) | instskip(NEXT) | instid1(VALU_DEP_2)
	v_fma_f64 v[19:20], v[19:20], v[23:24], -v[2:3]
	v_fma_f64 v[21:22], v[21:22], v[23:24], v[25:26]
	v_mov_b32_e32 v2, v1
	ds_store_b128 v4, v[19:22]
	s_branch .LBB69_17
.LBB69_22:                              ;   in Loop: Header=BB69_7 Depth=2
	s_set_inst_prefetch_distance 0x2
	s_or_b32 exec_lo, exec_lo, s25
	s_and_saveexec_b32 s25, vcc_lo
	s_cbranch_execz .LBB69_6
; %bb.23:                               ;   in Loop: Header=BB69_7 Depth=2
	s_mov_b32 s26, exec_lo
	v_cmpx_gt_u32_e64 s21, v5
	s_cbranch_execz .LBB69_25
; %bb.24:                               ;   in Loop: Header=BB69_7 Depth=2
	ds_load_b128 v[1:4], v12
	v_lshlrev_b64 v[19:20], 4, v[5:6]
	s_delay_alu instid0(VALU_DEP_1) | instskip(NEXT) | instid1(VALU_DEP_1)
	v_add_co_u32 v19, s4, v17, v19
	v_add_co_ci_u32_e64 v20, s4, v18, v20, s4
	s_waitcnt lgkmcnt(0)
	global_store_b128 v[19:20], v[1:4], off
.LBB69_25:                              ;   in Loop: Header=BB69_7 Depth=2
	s_or_b32 exec_lo, exec_lo, s26
	v_cmp_gt_u32_e64 s4, s21, v7
	s_delay_alu instid0(VALU_DEP_1)
	s_and_b32 exec_lo, exec_lo, s4
	s_cbranch_execz .LBB69_6
; %bb.26:                               ;   in Loop: Header=BB69_7 Depth=2
	ds_load_b128 v[1:4], v14
	v_mov_b32_e32 v8, v6
	s_delay_alu instid0(VALU_DEP_1) | instskip(NEXT) | instid1(VALU_DEP_1)
	v_lshlrev_b64 v[7:8], 4, v[7:8]
	v_add_co_u32 v7, s4, v17, v7
	s_delay_alu instid0(VALU_DEP_1)
	v_add_co_ci_u32_e64 v8, s4, v18, v8, s4
	s_waitcnt lgkmcnt(0)
	global_store_b128 v[7:8], v[1:4], off
	s_branch .LBB69_6
.LBB69_27:                              ;   in Loop: Header=BB69_7 Depth=2
	v_dual_mov_b32 v19, s8 :: v_dual_mov_b32 v20, s9
	v_dual_mov_b32 v21, s10 :: v_dual_mov_b32 v22, s11
	ds_store_b128 v14, v[19:22]
	s_and_not1_saveexec_b32 s26, s4
	s_cbranch_execz .LBB69_14
.LBB69_28:                              ;   in Loop: Header=BB69_7 Depth=2
	v_mov_b32_e32 v8, v6
	s_delay_alu instid0(VALU_DEP_1) | instskip(NEXT) | instid1(VALU_DEP_1)
	v_lshlrev_b64 v[19:20], 4, v[7:8]
	v_add_co_u32 v19, s4, v15, v19
	s_delay_alu instid0(VALU_DEP_1) | instskip(SKIP_4) | instid1(SALU_CYCLE_1)
	v_add_co_ci_u32_e64 v20, s4, v16, v20, s4
	global_load_b128 v[19:22], v[19:20], off
	s_waitcnt vmcnt(0)
	ds_store_b128 v14, v[19:22]
	s_or_b32 exec_lo, exec_lo, s26
	s_and_b32 exec_lo, exec_lo, s2
	s_cbranch_execnz .LBB69_15
	s_branch .LBB69_16
.LBB69_29:
	s_mov_b32 s2, 0
.LBB69_30:
	s_delay_alu instid0(SALU_CYCLE_1)
	s_and_not1_b32 vcc_lo, exec_lo, s2
	s_cbranch_vccnz .LBB69_61
; %bb.31:
	s_load_b32 s2, s[0:1], 0x44
	s_add_u32 s0, s0, 56
	s_addc_u32 s1, s1, 0
	s_mov_b32 s7, 0
	s_waitcnt lgkmcnt(0)
	s_lshr_b32 s2, s2, 16
	s_delay_alu instid0(SALU_CYCLE_1) | instskip(SKIP_1) | instid1(SALU_CYCLE_1)
	s_mul_hi_u32 s5, s2, s15
	s_mul_i32 s4, s2, s15
	v_cmp_ge_u64_e64 s3, s[4:5], s[6:7]
	s_delay_alu instid0(VALU_DEP_1)
	s_and_b32 vcc_lo, exec_lo, s3
	s_cbranch_vccnz .LBB69_61
; %bb.32:
	s_load_b32 s1, s[0:1], 0x0
	v_dual_mov_b32 v5, 0 :: v_dual_and_b32 v4, 0x3ff, v0
	s_lshl_b32 s12, 1, s22
	s_and_b32 s2, 0xffff, s2
	s_ashr_i32 s13, s12, 31
	s_cmp_lg_u32 s21, 0
	v_lshl_add_u32 v12, v4, 4, v11
	s_mov_b32 s14, s21
	s_cselect_b32 s3, -1, 0
	s_lshl_b64 s[20:21], s[12:13], 1
	v_cmp_eq_u32_e64 s0, 0, v4
	s_lshl_b32 s15, s20, 4
	v_lshl_add_u32 v14, s12, 4, v12
	v_add3_u32 v13, v11, s15, -16
	s_mov_b32 s15, s7
	s_add_i32 s25, s22, 1
	s_waitcnt lgkmcnt(0)
	s_mul_i32 s24, s1, s2
	s_branch .LBB69_34
.LBB69_33:                              ;   in Loop: Header=BB69_34 Depth=1
	s_add_u32 s4, s4, s24
	s_addc_u32 s5, s5, 0
	s_delay_alu instid0(SALU_CYCLE_1) | instskip(NEXT) | instid1(VALU_DEP_1)
	v_cmp_ge_u64_e64 s1, s[4:5], s[6:7]
	s_and_b32 vcc_lo, exec_lo, s1
	s_cbranch_vccnz .LBB69_61
.LBB69_34:                              ; =>This Loop Header: Depth=1
                                        ;     Child Loop BB69_37 Depth 2
                                        ;       Child Loop BB69_49 Depth 3
	s_and_not1_b32 vcc_lo, exec_lo, s3
	s_cbranch_vccnz .LBB69_33
; %bb.35:                               ;   in Loop: Header=BB69_34 Depth=1
	v_add_co_u32 v2, s1, s4, v10
	s_delay_alu instid0(VALU_DEP_1) | instskip(SKIP_1) | instid1(VALU_DEP_2)
	v_add_co_ci_u32_e64 v3, null, s5, 0, s1
	s_mov_b64 s[22:23], 0
	v_mad_u64_u32 v[0:1], null, v2, s14, 0
	s_delay_alu instid0(VALU_DEP_2) | instskip(SKIP_1) | instid1(VALU_DEP_3)
	v_cmp_gt_u64_e64 s1, s[6:7], v[2:3]
	v_cmp_le_u64_e64 s2, s[6:7], v[2:3]
	v_mad_u64_u32 v[6:7], null, v3, s14, v[1:2]
	v_dual_mov_b32 v2, s10 :: v_dual_mov_b32 v3, s11
	s_delay_alu instid0(VALU_DEP_2) | instskip(NEXT) | instid1(VALU_DEP_1)
	v_mov_b32_e32 v1, v6
	v_lshlrev_b64 v[6:7], 4, v[0:1]
	v_dual_mov_b32 v0, s8 :: v_dual_mov_b32 v1, s9
	s_delay_alu instid0(VALU_DEP_2) | instskip(NEXT) | instid1(VALU_DEP_3)
	v_add_co_u32 v15, vcc_lo, s18, v6
	v_add_co_ci_u32_e32 v16, vcc_lo, s19, v7, vcc_lo
	v_add_co_u32 v17, vcc_lo, s16, v6
	v_add_co_ci_u32_e32 v18, vcc_lo, s17, v7, vcc_lo
	s_branch .LBB69_37
.LBB69_36:                              ;   in Loop: Header=BB69_37 Depth=2
	s_or_b32 exec_lo, exec_lo, s26
	ds_load_b128 v[0:3], v13
	s_add_u32 s22, s22, s20
	s_addc_u32 s23, s23, s21
	s_waitcnt lgkmcnt(0)
	s_waitcnt_vscnt null, 0x0
	v_cmp_ge_u64_e64 s26, s[22:23], s[14:15]
	s_barrier
	buffer_gl0_inv
	s_and_b32 vcc_lo, exec_lo, s26
	s_cbranch_vccnz .LBB69_33
.LBB69_37:                              ;   Parent Loop BB69_34 Depth=1
                                        ; =>  This Loop Header: Depth=2
                                        ;       Child Loop BB69_49 Depth 3
	v_add_co_u32 v8, s26, s22, v4
	s_delay_alu instid0(VALU_DEP_1) | instskip(NEXT) | instid1(VALU_DEP_2)
	v_add_co_ci_u32_e64 v9, null, s23, 0, s26
	v_add_co_u32 v6, vcc_lo, v8, s12
	s_delay_alu instid0(VALU_DEP_2)
	v_add_co_ci_u32_e32 v7, vcc_lo, s13, v9, vcc_lo
	s_and_saveexec_b32 s26, s1
	s_cbranch_execz .LBB69_46
; %bb.38:                               ;   in Loop: Header=BB69_37 Depth=2
	s_mov_b32 s27, exec_lo
	v_cmpx_le_u64_e64 s[14:15], v[8:9]
	s_xor_b32 s27, exec_lo, s27
	s_cbranch_execz .LBB69_40
; %bb.39:                               ;   in Loop: Header=BB69_37 Depth=2
	v_dual_mov_b32 v19, s8 :: v_dual_mov_b32 v20, s9
	v_dual_mov_b32 v21, s10 :: v_dual_mov_b32 v22, s11
	ds_store_b128 v12, v[19:22]
.LBB69_40:                              ;   in Loop: Header=BB69_37 Depth=2
	s_and_not1_saveexec_b32 s27, s27
	s_cbranch_execz .LBB69_42
; %bb.41:                               ;   in Loop: Header=BB69_37 Depth=2
	v_lshlrev_b64 v[19:20], 4, v[8:9]
	s_delay_alu instid0(VALU_DEP_1) | instskip(NEXT) | instid1(VALU_DEP_2)
	v_add_co_u32 v19, vcc_lo, v15, v19
	v_add_co_ci_u32_e32 v20, vcc_lo, v16, v20, vcc_lo
	global_load_b128 v[19:22], v[19:20], off
	s_waitcnt vmcnt(0)
	ds_store_b128 v12, v[19:22]
.LBB69_42:                              ;   in Loop: Header=BB69_37 Depth=2
	s_or_b32 exec_lo, exec_lo, s27
	s_delay_alu instid0(SALU_CYCLE_1)
	s_mov_b32 s27, exec_lo
	v_cmpx_le_u64_e64 s[14:15], v[6:7]
	s_xor_b32 s27, exec_lo, s27
	s_cbranch_execnz .LBB69_59
; %bb.43:                               ;   in Loop: Header=BB69_37 Depth=2
	s_and_not1_saveexec_b32 s27, s27
	s_cbranch_execnz .LBB69_60
.LBB69_44:                              ;   in Loop: Header=BB69_37 Depth=2
	s_or_b32 exec_lo, exec_lo, s27
	s_delay_alu instid0(SALU_CYCLE_1)
	s_and_b32 exec_lo, exec_lo, s0
	s_cbranch_execz .LBB69_46
.LBB69_45:                              ;   in Loop: Header=BB69_37 Depth=2
	ds_load_b128 v[19:22], v11
	s_waitcnt lgkmcnt(0)
	v_mul_f64 v[23:24], v[2:3], v[21:22]
	v_mul_f64 v[21:22], v[0:1], v[21:22]
	s_delay_alu instid0(VALU_DEP_2) | instskip(NEXT) | instid1(VALU_DEP_2)
	v_fma_f64 v[0:1], v[0:1], v[19:20], -v[23:24]
	v_fma_f64 v[2:3], v[2:3], v[19:20], v[21:22]
	ds_store_b128 v11, v[0:3]
.LBB69_46:                              ;   in Loop: Header=BB69_37 Depth=2
	s_or_b32 exec_lo, exec_lo, s26
	v_mov_b32_e32 v19, 0
	s_mov_b32 s26, 0
	s_waitcnt lgkmcnt(0)
	s_barrier
	buffer_gl0_inv
	s_branch .LBB69_49
.LBB69_47:                              ;   in Loop: Header=BB69_49 Depth=3
	s_or_b32 exec_lo, exec_lo, s28
	v_lshrrev_b32_e32 v2, v19, v4
	s_delay_alu instid0(VALU_DEP_1) | instskip(NEXT) | instid1(VALU_DEP_1)
	v_lshl_or_b32 v0, v2, v3, v0
	v_lshl_add_u32 v0, v0, 4, v11
	s_delay_alu instid0(VALU_DEP_1)
	v_lshl_add_u32 v2, v1, 4, v0
	v_add_nc_u32_e32 v0, -16, v0
	ds_load_b128 v[19:22], v2
	ds_load_b128 v[23:26], v0
	s_waitcnt lgkmcnt(0)
	v_mul_f64 v[0:1], v[21:22], v[25:26]
	v_mul_f64 v[25:26], v[19:20], v[25:26]
	s_delay_alu instid0(VALU_DEP_2) | instskip(NEXT) | instid1(VALU_DEP_2)
	v_fma_f64 v[19:20], v[19:20], v[23:24], -v[0:1]
	v_fma_f64 v[21:22], v[21:22], v[23:24], v[25:26]
	ds_store_b128 v2, v[19:22]
.LBB69_48:                              ;   in Loop: Header=BB69_49 Depth=3
	s_or_b32 exec_lo, exec_lo, s27
	s_delay_alu instid0(VALU_DEP_1)
	v_cmp_eq_u32_e32 vcc_lo, s25, v3
	v_mov_b32_e32 v19, v3
	s_waitcnt lgkmcnt(0)
	s_barrier
	buffer_gl0_inv
	s_or_b32 s26, vcc_lo, s26
	s_delay_alu instid0(SALU_CYCLE_1)
	s_and_not1_b32 exec_lo, exec_lo, s26
	s_cbranch_execz .LBB69_54
.LBB69_49:                              ;   Parent Loop BB69_34 Depth=1
                                        ;     Parent Loop BB69_37 Depth=2
                                        ; =>    This Inner Loop Header: Depth=3
	v_add_nc_u32_e32 v3, 1, v19
	s_and_saveexec_b32 s27, s2
	s_delay_alu instid0(SALU_CYCLE_1)
	s_xor_b32 s27, exec_lo, s27
; %bb.50:                               ;   in Loop: Header=BB69_49 Depth=3
	v_add_nc_u32_e32 v3, 1, v19
                                        ; implicit-def: $vgpr19
; %bb.51:                               ;   in Loop: Header=BB69_49 Depth=3
	s_and_not1_saveexec_b32 s27, s27
	s_cbranch_execz .LBB69_48
; %bb.52:                               ;   in Loop: Header=BB69_49 Depth=3
	v_lshlrev_b32_e64 v0, v19, 1
	s_delay_alu instid0(VALU_DEP_1) | instskip(NEXT) | instid1(VALU_DEP_1)
	v_ashrrev_i32_e32 v1, 31, v0
	v_cmp_ge_u64_e32 vcc_lo, v[4:5], v[0:1]
	v_dual_mov_b32 v1, v4 :: v_dual_mov_b32 v2, v5
	s_and_saveexec_b32 s28, vcc_lo
	s_cbranch_execz .LBB69_47
; %bb.53:                               ;   in Loop: Header=BB69_49 Depth=3
	v_cvt_f32_u32_e32 v1, v0
	v_sub_nc_u32_e32 v2, 0, v0
	s_delay_alu instid0(VALU_DEP_2) | instskip(SKIP_2) | instid1(VALU_DEP_1)
	v_rcp_iflag_f32_e32 v1, v1
	s_waitcnt_depctr 0xfff
	v_mul_f32_e32 v1, 0x4f7ffffe, v1
	v_cvt_u32_f32_e32 v1, v1
	s_delay_alu instid0(VALU_DEP_1) | instskip(NEXT) | instid1(VALU_DEP_1)
	v_mul_lo_u32 v2, v2, v1
	v_mul_hi_u32 v2, v1, v2
	s_delay_alu instid0(VALU_DEP_1) | instskip(NEXT) | instid1(VALU_DEP_1)
	v_add_nc_u32_e32 v1, v1, v2
	v_mul_hi_u32 v1, v4, v1
	s_delay_alu instid0(VALU_DEP_1) | instskip(NEXT) | instid1(VALU_DEP_1)
	v_mul_lo_u32 v1, v1, v0
	v_sub_nc_u32_e32 v1, v4, v1
	s_delay_alu instid0(VALU_DEP_1) | instskip(SKIP_1) | instid1(VALU_DEP_2)
	v_sub_nc_u32_e32 v2, v1, v0
	v_cmp_ge_u32_e32 vcc_lo, v1, v0
	v_cndmask_b32_e32 v1, v1, v2, vcc_lo
	s_delay_alu instid0(VALU_DEP_1) | instskip(SKIP_1) | instid1(VALU_DEP_2)
	v_sub_nc_u32_e32 v2, v1, v0
	v_cmp_ge_u32_e32 vcc_lo, v1, v0
	v_cndmask_b32_e32 v1, v1, v2, vcc_lo
	s_branch .LBB69_47
.LBB69_54:                              ;   in Loop: Header=BB69_37 Depth=2
	s_or_b32 exec_lo, exec_lo, s26
	s_and_saveexec_b32 s26, s1
	s_cbranch_execz .LBB69_36
; %bb.55:                               ;   in Loop: Header=BB69_37 Depth=2
	s_mov_b32 s27, exec_lo
	v_cmpx_gt_u64_e64 s[14:15], v[8:9]
	s_cbranch_execz .LBB69_57
; %bb.56:                               ;   in Loop: Header=BB69_37 Depth=2
	ds_load_b128 v[0:3], v12
	v_lshlrev_b64 v[8:9], 4, v[8:9]
	s_delay_alu instid0(VALU_DEP_1) | instskip(NEXT) | instid1(VALU_DEP_2)
	v_add_co_u32 v8, vcc_lo, v17, v8
	v_add_co_ci_u32_e32 v9, vcc_lo, v18, v9, vcc_lo
	s_waitcnt lgkmcnt(0)
	global_store_b128 v[8:9], v[0:3], off
.LBB69_57:                              ;   in Loop: Header=BB69_37 Depth=2
	s_or_b32 exec_lo, exec_lo, s27
	v_cmp_gt_u64_e32 vcc_lo, s[14:15], v[6:7]
	s_and_b32 exec_lo, exec_lo, vcc_lo
	s_cbranch_execz .LBB69_36
; %bb.58:                               ;   in Loop: Header=BB69_37 Depth=2
	ds_load_b128 v[0:3], v14
	v_lshlrev_b64 v[6:7], 4, v[6:7]
	s_delay_alu instid0(VALU_DEP_1) | instskip(NEXT) | instid1(VALU_DEP_2)
	v_add_co_u32 v6, vcc_lo, v17, v6
	v_add_co_ci_u32_e32 v7, vcc_lo, v18, v7, vcc_lo
	s_waitcnt lgkmcnt(0)
	global_store_b128 v[6:7], v[0:3], off
	s_branch .LBB69_36
.LBB69_59:                              ;   in Loop: Header=BB69_37 Depth=2
	v_dual_mov_b32 v19, s8 :: v_dual_mov_b32 v20, s9
	v_dual_mov_b32 v21, s10 :: v_dual_mov_b32 v22, s11
	ds_store_b128 v14, v[19:22]
	s_and_not1_saveexec_b32 s27, s27
	s_cbranch_execz .LBB69_44
.LBB69_60:                              ;   in Loop: Header=BB69_37 Depth=2
	v_lshlrev_b64 v[19:20], 4, v[6:7]
	s_delay_alu instid0(VALU_DEP_1) | instskip(NEXT) | instid1(VALU_DEP_2)
	v_add_co_u32 v19, vcc_lo, v15, v19
	v_add_co_ci_u32_e32 v20, vcc_lo, v16, v20, vcc_lo
	global_load_b128 v[19:22], v[19:20], off
	s_waitcnt vmcnt(0)
	ds_store_b128 v14, v[19:22]
	s_or_b32 exec_lo, exec_lo, s27
	s_delay_alu instid0(SALU_CYCLE_1)
	s_and_b32 exec_lo, exec_lo, s0
	s_cbranch_execnz .LBB69_45
	s_branch .LBB69_46
.LBB69_61:
	s_endpgm
	.section	.rodata,"a",@progbits
	.p2align	6, 0x0
	.amdhsa_kernel _ZN2at6native32tensor_kernel_scan_innermost_dimIN3c107complexIdEESt10multipliesIS4_EEEvPT_PKS7_jjjS7_T0_
		.amdhsa_group_segment_fixed_size 0
		.amdhsa_private_segment_fixed_size 0
		.amdhsa_kernarg_size 312
		.amdhsa_user_sgpr_count 15
		.amdhsa_user_sgpr_dispatch_ptr 0
		.amdhsa_user_sgpr_queue_ptr 0
		.amdhsa_user_sgpr_kernarg_segment_ptr 1
		.amdhsa_user_sgpr_dispatch_id 0
		.amdhsa_user_sgpr_private_segment_size 0
		.amdhsa_wavefront_size32 1
		.amdhsa_uses_dynamic_stack 0
		.amdhsa_enable_private_segment 0
		.amdhsa_system_sgpr_workgroup_id_x 1
		.amdhsa_system_sgpr_workgroup_id_y 0
		.amdhsa_system_sgpr_workgroup_id_z 0
		.amdhsa_system_sgpr_workgroup_info 0
		.amdhsa_system_vgpr_workitem_id 1
		.amdhsa_next_free_vgpr 27
		.amdhsa_next_free_sgpr 29
		.amdhsa_reserve_vcc 1
		.amdhsa_float_round_mode_32 0
		.amdhsa_float_round_mode_16_64 0
		.amdhsa_float_denorm_mode_32 3
		.amdhsa_float_denorm_mode_16_64 3
		.amdhsa_dx10_clamp 1
		.amdhsa_ieee_mode 1
		.amdhsa_fp16_overflow 0
		.amdhsa_workgroup_processor_mode 1
		.amdhsa_memory_ordered 1
		.amdhsa_forward_progress 0
		.amdhsa_shared_vgpr_count 0
		.amdhsa_exception_fp_ieee_invalid_op 0
		.amdhsa_exception_fp_denorm_src 0
		.amdhsa_exception_fp_ieee_div_zero 0
		.amdhsa_exception_fp_ieee_overflow 0
		.amdhsa_exception_fp_ieee_underflow 0
		.amdhsa_exception_fp_ieee_inexact 0
		.amdhsa_exception_int_div_zero 0
	.end_amdhsa_kernel
	.section	.text._ZN2at6native32tensor_kernel_scan_innermost_dimIN3c107complexIdEESt10multipliesIS4_EEEvPT_PKS7_jjjS7_T0_,"axG",@progbits,_ZN2at6native32tensor_kernel_scan_innermost_dimIN3c107complexIdEESt10multipliesIS4_EEEvPT_PKS7_jjjS7_T0_,comdat
.Lfunc_end69:
	.size	_ZN2at6native32tensor_kernel_scan_innermost_dimIN3c107complexIdEESt10multipliesIS4_EEEvPT_PKS7_jjjS7_T0_, .Lfunc_end69-_ZN2at6native32tensor_kernel_scan_innermost_dimIN3c107complexIdEESt10multipliesIS4_EEEvPT_PKS7_jjjS7_T0_
                                        ; -- End function
	.section	.AMDGPU.csdata,"",@progbits
; Kernel info:
; codeLenInByte = 2372
; NumSgprs: 31
; NumVgprs: 27
; ScratchSize: 0
; MemoryBound: 0
; FloatMode: 240
; IeeeMode: 1
; LDSByteSize: 0 bytes/workgroup (compile time only)
; SGPRBlocks: 3
; VGPRBlocks: 3
; NumSGPRsForWavesPerEU: 31
; NumVGPRsForWavesPerEU: 27
; Occupancy: 16
; WaveLimiterHint : 0
; COMPUTE_PGM_RSRC2:SCRATCH_EN: 0
; COMPUTE_PGM_RSRC2:USER_SGPR: 15
; COMPUTE_PGM_RSRC2:TRAP_HANDLER: 0
; COMPUTE_PGM_RSRC2:TGID_X_EN: 1
; COMPUTE_PGM_RSRC2:TGID_Y_EN: 0
; COMPUTE_PGM_RSRC2:TGID_Z_EN: 0
; COMPUTE_PGM_RSRC2:TIDIG_COMP_CNT: 1
	.section	.text._ZN2at6native28tensor_kernel_scan_outer_dimIN3c107complexIdEEjSt10multipliesIS4_EEEvPT_PKS7_jjjS7_T1_,"axG",@progbits,_ZN2at6native28tensor_kernel_scan_outer_dimIN3c107complexIdEEjSt10multipliesIS4_EEEvPT_PKS7_jjjS7_T1_,comdat
	.protected	_ZN2at6native28tensor_kernel_scan_outer_dimIN3c107complexIdEEjSt10multipliesIS4_EEEvPT_PKS7_jjjS7_T1_ ; -- Begin function _ZN2at6native28tensor_kernel_scan_outer_dimIN3c107complexIdEEjSt10multipliesIS4_EEEvPT_PKS7_jjjS7_T1_
	.globl	_ZN2at6native28tensor_kernel_scan_outer_dimIN3c107complexIdEEjSt10multipliesIS4_EEEvPT_PKS7_jjjS7_T1_
	.p2align	8
	.type	_ZN2at6native28tensor_kernel_scan_outer_dimIN3c107complexIdEEjSt10multipliesIS4_EEEvPT_PKS7_jjjS7_T1_,@function
_ZN2at6native28tensor_kernel_scan_outer_dimIN3c107complexIdEEjSt10multipliesIS4_EEEvPT_PKS7_jjjS7_T1_: ; @_ZN2at6native28tensor_kernel_scan_outer_dimIN3c107complexIdEEjSt10multipliesIS4_EEEvPT_PKS7_jjjS7_T1_
; %bb.0:
	s_load_b128 s[4:7], s[0:1], 0x10
	s_waitcnt lgkmcnt(0)
	s_cmp_ge_u32 s14, s4
	s_cbranch_scc1 .LBB70_9
; %bb.1:
	s_clause 0x3
	s_load_b32 s12, s[0:1], 0x44
	s_load_b32 s7, s[0:1], 0x38
	s_load_b128 s[8:11], s[0:1], 0x0
	s_load_b128 s[16:19], s[0:1], 0x20
	s_add_u32 s2, s0, 56
	s_addc_u32 s3, s1, 0
	s_mul_i32 s0, s14, s6
	v_mov_b32_e32 v6, 0
	s_mul_i32 s22, s0, s5
	s_mov_b32 s13, 0
	s_waitcnt lgkmcnt(0)
	s_and_b32 s1, s12, 0xffff
	s_mov_b32 s12, s5
	v_mad_u64_u32 v[4:5], null, s15, s1, v[0:1]
	s_cmp_lg_u32 s6, 0
	s_mul_i32 s24, s7, s6
	s_cselect_b32 s15, -1, 0
	s_mul_i32 s24, s24, s5
	s_lshl_b64 s[20:21], s[12:13], 4
	s_mov_b32 s12, s22
	s_delay_alu instid0(VALU_DEP_1)
	v_cmp_gt_u32_e64 s0, s5, v4
	s_branch .LBB70_3
.LBB70_2:                               ;   in Loop: Header=BB70_3 Depth=1
	s_set_inst_prefetch_distance 0x2
	s_or_b32 exec_lo, exec_lo, s25
	s_add_i32 s14, s7, s14
	s_add_i32 s12, s12, s24
	s_cmp_ge_u32 s14, s4
	s_cbranch_scc1 .LBB70_9
.LBB70_3:                               ; =>This Loop Header: Depth=1
                                        ;     Child Loop BB70_6 Depth 2
                                        ;       Child Loop BB70_8 Depth 3
	s_delay_alu instid0(VALU_DEP_1)
	s_and_saveexec_b32 s25, s0
	s_cbranch_execz .LBB70_2
; %bb.4:                                ;   in Loop: Header=BB70_3 Depth=1
	s_load_b32 s26, s[2:3], 0x4
	v_mov_b32_e32 v5, v4
	s_lshl_b64 s[22:23], s[12:13], 4
	s_mov_b32 s27, 0
	s_or_b32 s22, s22, 8
	s_waitcnt lgkmcnt(0)
	s_mul_i32 s26, s26, s1
	s_set_inst_prefetch_distance 0x1
	s_branch .LBB70_6
	.p2align	6
.LBB70_5:                               ;   in Loop: Header=BB70_6 Depth=2
	v_add_nc_u32_e32 v5, s26, v5
	s_delay_alu instid0(VALU_DEP_1) | instskip(SKIP_1) | instid1(SALU_CYCLE_1)
	v_cmp_le_u32_e32 vcc_lo, s5, v5
	s_or_b32 s27, vcc_lo, s27
	s_and_not1_b32 exec_lo, exec_lo, s27
	s_cbranch_execz .LBB70_2
.LBB70_6:                               ;   Parent Loop BB70_3 Depth=1
                                        ; =>  This Loop Header: Depth=2
                                        ;       Child Loop BB70_8 Depth 3
	s_and_not1_b32 vcc_lo, exec_lo, s15
	s_cbranch_vccnz .LBB70_5
; %bb.7:                                ;   in Loop: Header=BB70_6 Depth=2
	v_lshlrev_b64 v[0:1], 4, v[5:6]
	v_dual_mov_b32 v2, s18 :: v_dual_mov_b32 v3, s19
	v_dual_mov_b32 v7, s16 :: v_dual_mov_b32 v8, s17
	s_mov_b32 s28, s6
	s_delay_alu instid0(VALU_DEP_3) | instskip(NEXT) | instid1(VALU_DEP_4)
	v_add_co_u32 v9, vcc_lo, s22, v0
	v_add_co_ci_u32_e32 v10, vcc_lo, s23, v1, vcc_lo
	.p2align	6
.LBB70_8:                               ;   Parent Loop BB70_3 Depth=1
                                        ;     Parent Loop BB70_6 Depth=2
                                        ; =>    This Inner Loop Header: Depth=3
	s_delay_alu instid0(VALU_DEP_2) | instskip(NEXT) | instid1(VALU_DEP_2)
	v_add_co_u32 v0, vcc_lo, s10, v9
	v_add_co_ci_u32_e32 v1, vcc_lo, s11, v10, vcc_lo
	s_add_i32 s28, s28, -1
	s_delay_alu instid0(SALU_CYCLE_1) | instskip(SKIP_4) | instid1(VALU_DEP_2)
	s_cmp_eq_u32 s28, 0
	global_load_b128 v[11:14], v[0:1], off offset:-8
	s_waitcnt vmcnt(0)
	v_mul_f64 v[0:1], v[2:3], v[13:14]
	v_mul_f64 v[13:14], v[7:8], v[13:14]
	v_fma_f64 v[0:1], v[7:8], v[11:12], -v[0:1]
	s_delay_alu instid0(VALU_DEP_2)
	v_fma_f64 v[2:3], v[2:3], v[11:12], v[13:14]
	v_add_co_u32 v11, vcc_lo, s8, v9
	v_add_co_ci_u32_e32 v12, vcc_lo, s9, v10, vcc_lo
	v_add_co_u32 v9, vcc_lo, v9, s20
	v_add_co_ci_u32_e32 v10, vcc_lo, s21, v10, vcc_lo
	v_dual_mov_b32 v8, v1 :: v_dual_mov_b32 v7, v0
	global_store_b128 v[11:12], v[0:3], off offset:-8
	s_cbranch_scc0 .LBB70_8
	s_branch .LBB70_5
.LBB70_9:
	s_nop 0
	s_sendmsg sendmsg(MSG_DEALLOC_VGPRS)
	s_endpgm
	.section	.rodata,"a",@progbits
	.p2align	6, 0x0
	.amdhsa_kernel _ZN2at6native28tensor_kernel_scan_outer_dimIN3c107complexIdEEjSt10multipliesIS4_EEEvPT_PKS7_jjjS7_T1_
		.amdhsa_group_segment_fixed_size 0
		.amdhsa_private_segment_fixed_size 0
		.amdhsa_kernarg_size 312
		.amdhsa_user_sgpr_count 14
		.amdhsa_user_sgpr_dispatch_ptr 0
		.amdhsa_user_sgpr_queue_ptr 0
		.amdhsa_user_sgpr_kernarg_segment_ptr 1
		.amdhsa_user_sgpr_dispatch_id 0
		.amdhsa_user_sgpr_private_segment_size 0
		.amdhsa_wavefront_size32 1
		.amdhsa_uses_dynamic_stack 0
		.amdhsa_enable_private_segment 0
		.amdhsa_system_sgpr_workgroup_id_x 1
		.amdhsa_system_sgpr_workgroup_id_y 1
		.amdhsa_system_sgpr_workgroup_id_z 0
		.amdhsa_system_sgpr_workgroup_info 0
		.amdhsa_system_vgpr_workitem_id 0
		.amdhsa_next_free_vgpr 15
		.amdhsa_next_free_sgpr 29
		.amdhsa_reserve_vcc 1
		.amdhsa_float_round_mode_32 0
		.amdhsa_float_round_mode_16_64 0
		.amdhsa_float_denorm_mode_32 3
		.amdhsa_float_denorm_mode_16_64 3
		.amdhsa_dx10_clamp 1
		.amdhsa_ieee_mode 1
		.amdhsa_fp16_overflow 0
		.amdhsa_workgroup_processor_mode 1
		.amdhsa_memory_ordered 1
		.amdhsa_forward_progress 0
		.amdhsa_shared_vgpr_count 0
		.amdhsa_exception_fp_ieee_invalid_op 0
		.amdhsa_exception_fp_denorm_src 0
		.amdhsa_exception_fp_ieee_div_zero 0
		.amdhsa_exception_fp_ieee_overflow 0
		.amdhsa_exception_fp_ieee_underflow 0
		.amdhsa_exception_fp_ieee_inexact 0
		.amdhsa_exception_int_div_zero 0
	.end_amdhsa_kernel
	.section	.text._ZN2at6native28tensor_kernel_scan_outer_dimIN3c107complexIdEEjSt10multipliesIS4_EEEvPT_PKS7_jjjS7_T1_,"axG",@progbits,_ZN2at6native28tensor_kernel_scan_outer_dimIN3c107complexIdEEjSt10multipliesIS4_EEEvPT_PKS7_jjjS7_T1_,comdat
.Lfunc_end70:
	.size	_ZN2at6native28tensor_kernel_scan_outer_dimIN3c107complexIdEEjSt10multipliesIS4_EEEvPT_PKS7_jjjS7_T1_, .Lfunc_end70-_ZN2at6native28tensor_kernel_scan_outer_dimIN3c107complexIdEEjSt10multipliesIS4_EEEvPT_PKS7_jjjS7_T1_
                                        ; -- End function
	.section	.AMDGPU.csdata,"",@progbits
; Kernel info:
; codeLenInByte = 432
; NumSgprs: 31
; NumVgprs: 15
; ScratchSize: 0
; MemoryBound: 0
; FloatMode: 240
; IeeeMode: 1
; LDSByteSize: 0 bytes/workgroup (compile time only)
; SGPRBlocks: 3
; VGPRBlocks: 1
; NumSGPRsForWavesPerEU: 31
; NumVGPRsForWavesPerEU: 15
; Occupancy: 16
; WaveLimiterHint : 0
; COMPUTE_PGM_RSRC2:SCRATCH_EN: 0
; COMPUTE_PGM_RSRC2:USER_SGPR: 14
; COMPUTE_PGM_RSRC2:TRAP_HANDLER: 0
; COMPUTE_PGM_RSRC2:TGID_X_EN: 1
; COMPUTE_PGM_RSRC2:TGID_Y_EN: 1
; COMPUTE_PGM_RSRC2:TGID_Z_EN: 0
; COMPUTE_PGM_RSRC2:TIDIG_COMP_CNT: 0
	.section	.text._ZN2at6native28tensor_kernel_scan_outer_dimIN3c107complexIdEEmSt10multipliesIS4_EEEvPT_PKS7_jjjS7_T1_,"axG",@progbits,_ZN2at6native28tensor_kernel_scan_outer_dimIN3c107complexIdEEmSt10multipliesIS4_EEEvPT_PKS7_jjjS7_T1_,comdat
	.protected	_ZN2at6native28tensor_kernel_scan_outer_dimIN3c107complexIdEEmSt10multipliesIS4_EEEvPT_PKS7_jjjS7_T1_ ; -- Begin function _ZN2at6native28tensor_kernel_scan_outer_dimIN3c107complexIdEEmSt10multipliesIS4_EEEvPT_PKS7_jjjS7_T1_
	.globl	_ZN2at6native28tensor_kernel_scan_outer_dimIN3c107complexIdEEmSt10multipliesIS4_EEEvPT_PKS7_jjjS7_T1_
	.p2align	8
	.type	_ZN2at6native28tensor_kernel_scan_outer_dimIN3c107complexIdEEmSt10multipliesIS4_EEEvPT_PKS7_jjjS7_T1_,@function
_ZN2at6native28tensor_kernel_scan_outer_dimIN3c107complexIdEEmSt10multipliesIS4_EEEvPT_PKS7_jjjS7_T1_: ; @_ZN2at6native28tensor_kernel_scan_outer_dimIN3c107complexIdEEmSt10multipliesIS4_EEEvPT_PKS7_jjjS7_T1_
; %bb.0:
	s_load_b128 s[4:7], s[0:1], 0x10
	s_waitcnt lgkmcnt(0)
	s_cmp_ge_u32 s14, s4
	s_cbranch_scc1 .LBB71_9
; %bb.1:
	s_clause 0x3
	s_load_b32 s12, s[0:1], 0x44
	s_load_b32 s7, s[0:1], 0x38
	s_load_b128 s[8:11], s[0:1], 0x0
	s_load_b128 s[16:19], s[0:1], 0x20
	s_add_u32 s2, s0, 56
	s_addc_u32 s3, s1, 0
	v_mov_b32_e32 v6, 0
	s_mov_b32 s21, 0
	s_mul_hi_u32 s13, s6, s5
	s_mov_b32 s20, s5
	s_waitcnt lgkmcnt(0)
	s_and_b32 s1, s12, 0xffff
	s_cmp_lg_u32 s6, 0
	v_mad_u64_u32 v[4:5], null, s15, s1, v[0:1]
	s_mul_i32 s12, s6, s5
	s_cselect_b32 s15, -1, 0
	s_lshl_b64 s[12:13], s[12:13], 4
	s_lshl_b64 s[20:21], s[20:21], 4
	s_delay_alu instid0(VALU_DEP_1)
	v_cmp_gt_u32_e64 s0, s5, v4
	s_branch .LBB71_3
.LBB71_2:                               ;   in Loop: Header=BB71_3 Depth=1
	s_set_inst_prefetch_distance 0x2
	s_or_b32 exec_lo, exec_lo, s22
	s_add_i32 s14, s14, s7
	s_delay_alu instid0(SALU_CYCLE_1)
	s_cmp_ge_u32 s14, s4
	s_cbranch_scc1 .LBB71_9
.LBB71_3:                               ; =>This Loop Header: Depth=1
                                        ;     Child Loop BB71_6 Depth 2
                                        ;       Child Loop BB71_8 Depth 3
	s_delay_alu instid0(VALU_DEP_1)
	s_and_saveexec_b32 s22, s0
	s_cbranch_execz .LBB71_2
; %bb.4:                                ;   in Loop: Header=BB71_3 Depth=1
	s_load_b32 s25, s[2:3], 0x4
	s_mul_i32 s23, s13, s14
	s_mul_hi_u32 s24, s12, s14
	s_mul_i32 s26, s12, s14
	v_mov_b32_e32 v5, v4
	s_add_i32 s24, s24, s23
	s_add_u32 s23, s26, 8
	s_addc_u32 s24, s24, 0
	s_mov_b32 s26, 0
	s_waitcnt lgkmcnt(0)
	s_mul_i32 s25, s25, s1
	s_set_inst_prefetch_distance 0x1
	s_branch .LBB71_6
	.p2align	6
.LBB71_5:                               ;   in Loop: Header=BB71_6 Depth=2
	v_add_nc_u32_e32 v5, s25, v5
	s_delay_alu instid0(VALU_DEP_1) | instskip(SKIP_1) | instid1(SALU_CYCLE_1)
	v_cmp_le_u32_e32 vcc_lo, s5, v5
	s_or_b32 s26, vcc_lo, s26
	s_and_not1_b32 exec_lo, exec_lo, s26
	s_cbranch_execz .LBB71_2
.LBB71_6:                               ;   Parent Loop BB71_3 Depth=1
                                        ; =>  This Loop Header: Depth=2
                                        ;       Child Loop BB71_8 Depth 3
	s_and_not1_b32 vcc_lo, exec_lo, s15
	s_cbranch_vccnz .LBB71_5
; %bb.7:                                ;   in Loop: Header=BB71_6 Depth=2
	v_lshlrev_b64 v[0:1], 4, v[5:6]
	v_dual_mov_b32 v2, s18 :: v_dual_mov_b32 v3, s19
	v_dual_mov_b32 v7, s16 :: v_dual_mov_b32 v8, s17
	s_mov_b32 s27, s6
	s_delay_alu instid0(VALU_DEP_3) | instskip(NEXT) | instid1(VALU_DEP_4)
	v_add_co_u32 v9, vcc_lo, s23, v0
	v_add_co_ci_u32_e32 v10, vcc_lo, s24, v1, vcc_lo
	.p2align	6
.LBB71_8:                               ;   Parent Loop BB71_3 Depth=1
                                        ;     Parent Loop BB71_6 Depth=2
                                        ; =>    This Inner Loop Header: Depth=3
	s_delay_alu instid0(VALU_DEP_2) | instskip(NEXT) | instid1(VALU_DEP_2)
	v_add_co_u32 v0, vcc_lo, s10, v9
	v_add_co_ci_u32_e32 v1, vcc_lo, s11, v10, vcc_lo
	s_add_i32 s27, s27, -1
	s_delay_alu instid0(SALU_CYCLE_1) | instskip(SKIP_4) | instid1(VALU_DEP_2)
	s_cmp_eq_u32 s27, 0
	global_load_b128 v[11:14], v[0:1], off offset:-8
	s_waitcnt vmcnt(0)
	v_mul_f64 v[0:1], v[2:3], v[13:14]
	v_mul_f64 v[13:14], v[7:8], v[13:14]
	v_fma_f64 v[0:1], v[7:8], v[11:12], -v[0:1]
	s_delay_alu instid0(VALU_DEP_2)
	v_fma_f64 v[2:3], v[2:3], v[11:12], v[13:14]
	v_add_co_u32 v11, vcc_lo, s8, v9
	v_add_co_ci_u32_e32 v12, vcc_lo, s9, v10, vcc_lo
	v_add_co_u32 v9, vcc_lo, v9, s20
	v_add_co_ci_u32_e32 v10, vcc_lo, s21, v10, vcc_lo
	v_dual_mov_b32 v8, v1 :: v_dual_mov_b32 v7, v0
	global_store_b128 v[11:12], v[0:3], off offset:-8
	s_cbranch_scc0 .LBB71_8
	s_branch .LBB71_5
.LBB71_9:
	s_nop 0
	s_sendmsg sendmsg(MSG_DEALLOC_VGPRS)
	s_endpgm
	.section	.rodata,"a",@progbits
	.p2align	6, 0x0
	.amdhsa_kernel _ZN2at6native28tensor_kernel_scan_outer_dimIN3c107complexIdEEmSt10multipliesIS4_EEEvPT_PKS7_jjjS7_T1_
		.amdhsa_group_segment_fixed_size 0
		.amdhsa_private_segment_fixed_size 0
		.amdhsa_kernarg_size 312
		.amdhsa_user_sgpr_count 14
		.amdhsa_user_sgpr_dispatch_ptr 0
		.amdhsa_user_sgpr_queue_ptr 0
		.amdhsa_user_sgpr_kernarg_segment_ptr 1
		.amdhsa_user_sgpr_dispatch_id 0
		.amdhsa_user_sgpr_private_segment_size 0
		.amdhsa_wavefront_size32 1
		.amdhsa_uses_dynamic_stack 0
		.amdhsa_enable_private_segment 0
		.amdhsa_system_sgpr_workgroup_id_x 1
		.amdhsa_system_sgpr_workgroup_id_y 1
		.amdhsa_system_sgpr_workgroup_id_z 0
		.amdhsa_system_sgpr_workgroup_info 0
		.amdhsa_system_vgpr_workitem_id 0
		.amdhsa_next_free_vgpr 15
		.amdhsa_next_free_sgpr 28
		.amdhsa_reserve_vcc 1
		.amdhsa_float_round_mode_32 0
		.amdhsa_float_round_mode_16_64 0
		.amdhsa_float_denorm_mode_32 3
		.amdhsa_float_denorm_mode_16_64 3
		.amdhsa_dx10_clamp 1
		.amdhsa_ieee_mode 1
		.amdhsa_fp16_overflow 0
		.amdhsa_workgroup_processor_mode 1
		.amdhsa_memory_ordered 1
		.amdhsa_forward_progress 0
		.amdhsa_shared_vgpr_count 0
		.amdhsa_exception_fp_ieee_invalid_op 0
		.amdhsa_exception_fp_denorm_src 0
		.amdhsa_exception_fp_ieee_div_zero 0
		.amdhsa_exception_fp_ieee_overflow 0
		.amdhsa_exception_fp_ieee_underflow 0
		.amdhsa_exception_fp_ieee_inexact 0
		.amdhsa_exception_int_div_zero 0
	.end_amdhsa_kernel
	.section	.text._ZN2at6native28tensor_kernel_scan_outer_dimIN3c107complexIdEEmSt10multipliesIS4_EEEvPT_PKS7_jjjS7_T1_,"axG",@progbits,_ZN2at6native28tensor_kernel_scan_outer_dimIN3c107complexIdEEmSt10multipliesIS4_EEEvPT_PKS7_jjjS7_T1_,comdat
.Lfunc_end71:
	.size	_ZN2at6native28tensor_kernel_scan_outer_dimIN3c107complexIdEEmSt10multipliesIS4_EEEvPT_PKS7_jjjS7_T1_, .Lfunc_end71-_ZN2at6native28tensor_kernel_scan_outer_dimIN3c107complexIdEEmSt10multipliesIS4_EEEvPT_PKS7_jjjS7_T1_
                                        ; -- End function
	.section	.AMDGPU.csdata,"",@progbits
; Kernel info:
; codeLenInByte = 440
; NumSgprs: 30
; NumVgprs: 15
; ScratchSize: 0
; MemoryBound: 0
; FloatMode: 240
; IeeeMode: 1
; LDSByteSize: 0 bytes/workgroup (compile time only)
; SGPRBlocks: 3
; VGPRBlocks: 1
; NumSGPRsForWavesPerEU: 30
; NumVGPRsForWavesPerEU: 15
; Occupancy: 16
; WaveLimiterHint : 0
; COMPUTE_PGM_RSRC2:SCRATCH_EN: 0
; COMPUTE_PGM_RSRC2:USER_SGPR: 14
; COMPUTE_PGM_RSRC2:TRAP_HANDLER: 0
; COMPUTE_PGM_RSRC2:TGID_X_EN: 1
; COMPUTE_PGM_RSRC2:TGID_Y_EN: 1
; COMPUTE_PGM_RSRC2:TGID_Z_EN: 0
; COMPUTE_PGM_RSRC2:TIDIG_COMP_CNT: 0
	.section	.text._ZN7rocprim17ROCPRIM_304000_NS6detail31init_lookback_scan_state_kernelINS1_19lookback_scan_stateIN3c107complexIfEELb1ELb1EEEEEvT_jjPNS8_10value_typeE,"axG",@progbits,_ZN7rocprim17ROCPRIM_304000_NS6detail31init_lookback_scan_state_kernelINS1_19lookback_scan_stateIN3c107complexIfEELb1ELb1EEEEEvT_jjPNS8_10value_typeE,comdat
	.protected	_ZN7rocprim17ROCPRIM_304000_NS6detail31init_lookback_scan_state_kernelINS1_19lookback_scan_stateIN3c107complexIfEELb1ELb1EEEEEvT_jjPNS8_10value_typeE ; -- Begin function _ZN7rocprim17ROCPRIM_304000_NS6detail31init_lookback_scan_state_kernelINS1_19lookback_scan_stateIN3c107complexIfEELb1ELb1EEEEEvT_jjPNS8_10value_typeE
	.globl	_ZN7rocprim17ROCPRIM_304000_NS6detail31init_lookback_scan_state_kernelINS1_19lookback_scan_stateIN3c107complexIfEELb1ELb1EEEEEvT_jjPNS8_10value_typeE
	.p2align	8
	.type	_ZN7rocprim17ROCPRIM_304000_NS6detail31init_lookback_scan_state_kernelINS1_19lookback_scan_stateIN3c107complexIfEELb1ELb1EEEEEvT_jjPNS8_10value_typeE,@function
_ZN7rocprim17ROCPRIM_304000_NS6detail31init_lookback_scan_state_kernelINS1_19lookback_scan_stateIN3c107complexIfEELb1ELb1EEEEEvT_jjPNS8_10value_typeE: ; @_ZN7rocprim17ROCPRIM_304000_NS6detail31init_lookback_scan_state_kernelINS1_19lookback_scan_stateIN3c107complexIfEELb1ELb1EEEEEvT_jjPNS8_10value_typeE
; %bb.0:
	s_clause 0x2
	s_load_b32 s6, s[0:1], 0x24
	s_load_b64 s[4:5], s[0:1], 0x10
	s_load_b128 s[0:3], s[0:1], 0x0
	s_waitcnt lgkmcnt(0)
	s_and_b32 s6, s6, 0xffff
	s_cmp_eq_u64 s[4:5], 0
	v_mad_u64_u32 v[1:2], null, s15, s6, v[0:1]
	s_cbranch_scc1 .LBB72_10
; %bb.1:
	s_cmp_lt_u32 s3, s2
	s_mov_b32 s7, 0
	s_cselect_b32 s6, s3, 0
	s_mov_b32 s8, exec_lo
	s_delay_alu instid0(VALU_DEP_1)
	v_cmpx_eq_u32_e64 s6, v1
	s_cbranch_execz .LBB72_9
; %bb.2:
	s_add_i32 s6, s3, 32
	s_mov_b32 s3, exec_lo
	s_lshl_b64 s[6:7], s[6:7], 4
	v_mov_b32_e32 v6, 0
	s_add_u32 s6, s0, s6
	s_addc_u32 s7, s1, s7
	s_delay_alu instid0(SALU_CYCLE_1) | instskip(SKIP_2) | instid1(VALU_DEP_1)
	v_dual_mov_b32 v2, s6 :: v_dual_mov_b32 v3, s7
	;;#ASMSTART
	global_load_dwordx4 v[2:5], v[2:3] off glc	
s_waitcnt vmcnt(0)
	;;#ASMEND
	v_and_b32_e32 v5, 0xff, v4
	v_cmpx_eq_u64_e32 0, v[5:6]
	s_cbranch_execz .LBB72_8
; %bb.3:
	v_dual_mov_b32 v8, s7 :: v_dual_mov_b32 v7, s6
	s_mov_b32 s7, 1
	s_mov_b32 s6, 0
	.p2align	6
.LBB72_4:                               ; =>This Loop Header: Depth=1
                                        ;     Child Loop BB72_5 Depth 2
	s_max_u32 s9, s7, 1
.LBB72_5:                               ;   Parent Loop BB72_4 Depth=1
                                        ; =>  This Inner Loop Header: Depth=2
	s_delay_alu instid0(SALU_CYCLE_1)
	s_add_i32 s9, s9, -1
	s_sleep 1
	s_cmp_eq_u32 s9, 0
	s_cbranch_scc0 .LBB72_5
; %bb.6:                                ;   in Loop: Header=BB72_4 Depth=1
	;;#ASMSTART
	global_load_dwordx4 v[2:5], v[7:8] off glc	
s_waitcnt vmcnt(0)
	;;#ASMEND
	v_and_b32_e32 v5, 0xff, v4
	s_cmp_lt_u32 s7, 32
	s_cselect_b32 s9, -1, 0
	s_delay_alu instid0(SALU_CYCLE_1) | instskip(NEXT) | instid1(VALU_DEP_1)
	s_cmp_lg_u32 s9, 0
	v_cmp_ne_u64_e32 vcc_lo, 0, v[5:6]
	s_addc_u32 s7, s7, 0
	s_or_b32 s6, vcc_lo, s6
	s_delay_alu instid0(SALU_CYCLE_1)
	s_and_not1_b32 exec_lo, exec_lo, s6
	s_cbranch_execnz .LBB72_4
; %bb.7:
	s_or_b32 exec_lo, exec_lo, s6
.LBB72_8:
	s_delay_alu instid0(SALU_CYCLE_1)
	s_or_b32 exec_lo, exec_lo, s3
	v_mov_b32_e32 v0, 0
	global_store_b64 v0, v[2:3], s[4:5]
.LBB72_9:
	s_or_b32 exec_lo, exec_lo, s8
.LBB72_10:
	s_delay_alu instid0(VALU_DEP_1)
	v_cmp_gt_u32_e32 vcc_lo, s2, v1
	s_and_saveexec_b32 s2, vcc_lo
	s_cbranch_execz .LBB72_12
; %bb.11:
	v_dual_mov_b32 v3, 0 :: v_dual_add_nc_u32 v2, 32, v1
	s_delay_alu instid0(VALU_DEP_1) | instskip(SKIP_2) | instid1(VALU_DEP_3)
	v_lshlrev_b64 v[5:6], 4, v[2:3]
	v_mov_b32_e32 v2, v3
	v_mov_b32_e32 v4, v3
	v_add_co_u32 v7, vcc_lo, s0, v5
	s_delay_alu instid0(VALU_DEP_4)
	v_add_co_ci_u32_e32 v8, vcc_lo, s1, v6, vcc_lo
	v_mov_b32_e32 v5, v3
	global_store_b128 v[7:8], v[2:5], off
.LBB72_12:
	s_or_b32 exec_lo, exec_lo, s2
	s_delay_alu instid0(SALU_CYCLE_1)
	s_mov_b32 s2, exec_lo
	v_cmpx_gt_u32_e32 32, v1
	s_cbranch_execz .LBB72_14
; %bb.13:
	v_dual_mov_b32 v2, 0 :: v_dual_mov_b32 v3, 0xff
	s_delay_alu instid0(VALU_DEP_1) | instskip(SKIP_1) | instid1(VALU_DEP_2)
	v_lshlrev_b64 v[4:5], 4, v[1:2]
	v_mov_b32_e32 v1, v2
	v_add_co_u32 v6, vcc_lo, s0, v4
	s_delay_alu instid0(VALU_DEP_3)
	v_add_co_ci_u32_e32 v7, vcc_lo, s1, v5, vcc_lo
	v_mov_b32_e32 v4, v2
	global_store_b128 v[6:7], v[1:4], off
.LBB72_14:
	s_nop 0
	s_sendmsg sendmsg(MSG_DEALLOC_VGPRS)
	s_endpgm
	.section	.rodata,"a",@progbits
	.p2align	6, 0x0
	.amdhsa_kernel _ZN7rocprim17ROCPRIM_304000_NS6detail31init_lookback_scan_state_kernelINS1_19lookback_scan_stateIN3c107complexIfEELb1ELb1EEEEEvT_jjPNS8_10value_typeE
		.amdhsa_group_segment_fixed_size 0
		.amdhsa_private_segment_fixed_size 0
		.amdhsa_kernarg_size 280
		.amdhsa_user_sgpr_count 15
		.amdhsa_user_sgpr_dispatch_ptr 0
		.amdhsa_user_sgpr_queue_ptr 0
		.amdhsa_user_sgpr_kernarg_segment_ptr 1
		.amdhsa_user_sgpr_dispatch_id 0
		.amdhsa_user_sgpr_private_segment_size 0
		.amdhsa_wavefront_size32 1
		.amdhsa_uses_dynamic_stack 0
		.amdhsa_enable_private_segment 0
		.amdhsa_system_sgpr_workgroup_id_x 1
		.amdhsa_system_sgpr_workgroup_id_y 0
		.amdhsa_system_sgpr_workgroup_id_z 0
		.amdhsa_system_sgpr_workgroup_info 0
		.amdhsa_system_vgpr_workitem_id 0
		.amdhsa_next_free_vgpr 9
		.amdhsa_next_free_sgpr 16
		.amdhsa_reserve_vcc 1
		.amdhsa_float_round_mode_32 0
		.amdhsa_float_round_mode_16_64 0
		.amdhsa_float_denorm_mode_32 3
		.amdhsa_float_denorm_mode_16_64 3
		.amdhsa_dx10_clamp 1
		.amdhsa_ieee_mode 1
		.amdhsa_fp16_overflow 0
		.amdhsa_workgroup_processor_mode 1
		.amdhsa_memory_ordered 1
		.amdhsa_forward_progress 0
		.amdhsa_shared_vgpr_count 0
		.amdhsa_exception_fp_ieee_invalid_op 0
		.amdhsa_exception_fp_denorm_src 0
		.amdhsa_exception_fp_ieee_div_zero 0
		.amdhsa_exception_fp_ieee_overflow 0
		.amdhsa_exception_fp_ieee_underflow 0
		.amdhsa_exception_fp_ieee_inexact 0
		.amdhsa_exception_int_div_zero 0
	.end_amdhsa_kernel
	.section	.text._ZN7rocprim17ROCPRIM_304000_NS6detail31init_lookback_scan_state_kernelINS1_19lookback_scan_stateIN3c107complexIfEELb1ELb1EEEEEvT_jjPNS8_10value_typeE,"axG",@progbits,_ZN7rocprim17ROCPRIM_304000_NS6detail31init_lookback_scan_state_kernelINS1_19lookback_scan_stateIN3c107complexIfEELb1ELb1EEEEEvT_jjPNS8_10value_typeE,comdat
.Lfunc_end72:
	.size	_ZN7rocprim17ROCPRIM_304000_NS6detail31init_lookback_scan_state_kernelINS1_19lookback_scan_stateIN3c107complexIfEELb1ELb1EEEEEvT_jjPNS8_10value_typeE, .Lfunc_end72-_ZN7rocprim17ROCPRIM_304000_NS6detail31init_lookback_scan_state_kernelINS1_19lookback_scan_stateIN3c107complexIfEELb1ELb1EEEEEvT_jjPNS8_10value_typeE
                                        ; -- End function
	.section	.AMDGPU.csdata,"",@progbits
; Kernel info:
; codeLenInByte = 496
; NumSgprs: 18
; NumVgprs: 9
; ScratchSize: 0
; MemoryBound: 0
; FloatMode: 240
; IeeeMode: 1
; LDSByteSize: 0 bytes/workgroup (compile time only)
; SGPRBlocks: 2
; VGPRBlocks: 1
; NumSGPRsForWavesPerEU: 18
; NumVGPRsForWavesPerEU: 9
; Occupancy: 16
; WaveLimiterHint : 0
; COMPUTE_PGM_RSRC2:SCRATCH_EN: 0
; COMPUTE_PGM_RSRC2:USER_SGPR: 15
; COMPUTE_PGM_RSRC2:TRAP_HANDLER: 0
; COMPUTE_PGM_RSRC2:TGID_X_EN: 1
; COMPUTE_PGM_RSRC2:TGID_Y_EN: 0
; COMPUTE_PGM_RSRC2:TGID_Z_EN: 0
; COMPUTE_PGM_RSRC2:TIDIG_COMP_CNT: 0
	.section	.text._ZN7rocprim17ROCPRIM_304000_NS6detail31init_lookback_scan_state_kernelINS1_19lookback_scan_stateIN3c107complexIfEELb0ELb1EEEEEvT_jjPNS8_10value_typeE,"axG",@progbits,_ZN7rocprim17ROCPRIM_304000_NS6detail31init_lookback_scan_state_kernelINS1_19lookback_scan_stateIN3c107complexIfEELb0ELb1EEEEEvT_jjPNS8_10value_typeE,comdat
	.protected	_ZN7rocprim17ROCPRIM_304000_NS6detail31init_lookback_scan_state_kernelINS1_19lookback_scan_stateIN3c107complexIfEELb0ELb1EEEEEvT_jjPNS8_10value_typeE ; -- Begin function _ZN7rocprim17ROCPRIM_304000_NS6detail31init_lookback_scan_state_kernelINS1_19lookback_scan_stateIN3c107complexIfEELb0ELb1EEEEEvT_jjPNS8_10value_typeE
	.globl	_ZN7rocprim17ROCPRIM_304000_NS6detail31init_lookback_scan_state_kernelINS1_19lookback_scan_stateIN3c107complexIfEELb0ELb1EEEEEvT_jjPNS8_10value_typeE
	.p2align	8
	.type	_ZN7rocprim17ROCPRIM_304000_NS6detail31init_lookback_scan_state_kernelINS1_19lookback_scan_stateIN3c107complexIfEELb0ELb1EEEEEvT_jjPNS8_10value_typeE,@function
_ZN7rocprim17ROCPRIM_304000_NS6detail31init_lookback_scan_state_kernelINS1_19lookback_scan_stateIN3c107complexIfEELb0ELb1EEEEEvT_jjPNS8_10value_typeE: ; @_ZN7rocprim17ROCPRIM_304000_NS6detail31init_lookback_scan_state_kernelINS1_19lookback_scan_stateIN3c107complexIfEELb0ELb1EEEEEvT_jjPNS8_10value_typeE
; %bb.0:
	s_clause 0x2
	s_load_b32 s6, s[0:1], 0x24
	s_load_b64 s[4:5], s[0:1], 0x10
	s_load_b128 s[0:3], s[0:1], 0x0
	s_waitcnt lgkmcnt(0)
	s_and_b32 s6, s6, 0xffff
	s_cmp_eq_u64 s[4:5], 0
	v_mad_u64_u32 v[1:2], null, s15, s6, v[0:1]
	s_cbranch_scc1 .LBB73_8
; %bb.1:
	s_cmp_lt_u32 s3, s2
	s_mov_b32 s7, 0
	s_cselect_b32 s6, s3, 0
	s_mov_b32 s8, exec_lo
	s_delay_alu instid0(VALU_DEP_1)
	v_cmpx_eq_u32_e64 s6, v1
	s_cbranch_execz .LBB73_7
; %bb.2:
	s_add_i32 s6, s3, 32
	s_mov_b32 s3, exec_lo
	s_lshl_b64 s[6:7], s[6:7], 4
	v_mov_b32_e32 v6, 0
	s_add_u32 s6, s0, s6
	s_addc_u32 s7, s1, s7
	s_delay_alu instid0(SALU_CYCLE_1) | instskip(SKIP_2) | instid1(VALU_DEP_1)
	v_dual_mov_b32 v2, s6 :: v_dual_mov_b32 v3, s7
	;;#ASMSTART
	global_load_dwordx4 v[2:5], v[2:3] off glc	
s_waitcnt vmcnt(0)
	;;#ASMEND
	v_and_b32_e32 v5, 0xff, v4
	v_cmpx_eq_u64_e32 0, v[5:6]
	s_cbranch_execz .LBB73_6
; %bb.3:
	v_dual_mov_b32 v8, s7 :: v_dual_mov_b32 v7, s6
	s_mov_b32 s6, 0
.LBB73_4:                               ; =>This Inner Loop Header: Depth=1
	;;#ASMSTART
	global_load_dwordx4 v[2:5], v[7:8] off glc	
s_waitcnt vmcnt(0)
	;;#ASMEND
	v_and_b32_e32 v5, 0xff, v4
	s_delay_alu instid0(VALU_DEP_1) | instskip(SKIP_1) | instid1(SALU_CYCLE_1)
	v_cmp_ne_u64_e32 vcc_lo, 0, v[5:6]
	s_or_b32 s6, vcc_lo, s6
	s_and_not1_b32 exec_lo, exec_lo, s6
	s_cbranch_execnz .LBB73_4
; %bb.5:
	s_or_b32 exec_lo, exec_lo, s6
.LBB73_6:
	s_delay_alu instid0(SALU_CYCLE_1)
	s_or_b32 exec_lo, exec_lo, s3
	v_mov_b32_e32 v0, 0
	global_store_b64 v0, v[2:3], s[4:5]
.LBB73_7:
	s_or_b32 exec_lo, exec_lo, s8
.LBB73_8:
	s_delay_alu instid0(VALU_DEP_1)
	v_cmp_gt_u32_e32 vcc_lo, s2, v1
	s_and_saveexec_b32 s2, vcc_lo
	s_cbranch_execz .LBB73_10
; %bb.9:
	v_dual_mov_b32 v3, 0 :: v_dual_add_nc_u32 v2, 32, v1
	s_delay_alu instid0(VALU_DEP_1) | instskip(SKIP_2) | instid1(VALU_DEP_3)
	v_lshlrev_b64 v[5:6], 4, v[2:3]
	v_mov_b32_e32 v2, v3
	v_mov_b32_e32 v4, v3
	v_add_co_u32 v7, vcc_lo, s0, v5
	s_delay_alu instid0(VALU_DEP_4)
	v_add_co_ci_u32_e32 v8, vcc_lo, s1, v6, vcc_lo
	v_mov_b32_e32 v5, v3
	global_store_b128 v[7:8], v[2:5], off
.LBB73_10:
	s_or_b32 exec_lo, exec_lo, s2
	s_delay_alu instid0(SALU_CYCLE_1)
	s_mov_b32 s2, exec_lo
	v_cmpx_gt_u32_e32 32, v1
	s_cbranch_execz .LBB73_12
; %bb.11:
	v_dual_mov_b32 v2, 0 :: v_dual_mov_b32 v3, 0xff
	s_delay_alu instid0(VALU_DEP_1) | instskip(SKIP_1) | instid1(VALU_DEP_2)
	v_lshlrev_b64 v[4:5], 4, v[1:2]
	v_mov_b32_e32 v1, v2
	v_add_co_u32 v6, vcc_lo, s0, v4
	s_delay_alu instid0(VALU_DEP_3)
	v_add_co_ci_u32_e32 v7, vcc_lo, s1, v5, vcc_lo
	v_mov_b32_e32 v4, v2
	global_store_b128 v[6:7], v[1:4], off
.LBB73_12:
	s_nop 0
	s_sendmsg sendmsg(MSG_DEALLOC_VGPRS)
	s_endpgm
	.section	.rodata,"a",@progbits
	.p2align	6, 0x0
	.amdhsa_kernel _ZN7rocprim17ROCPRIM_304000_NS6detail31init_lookback_scan_state_kernelINS1_19lookback_scan_stateIN3c107complexIfEELb0ELb1EEEEEvT_jjPNS8_10value_typeE
		.amdhsa_group_segment_fixed_size 0
		.amdhsa_private_segment_fixed_size 0
		.amdhsa_kernarg_size 280
		.amdhsa_user_sgpr_count 15
		.amdhsa_user_sgpr_dispatch_ptr 0
		.amdhsa_user_sgpr_queue_ptr 0
		.amdhsa_user_sgpr_kernarg_segment_ptr 1
		.amdhsa_user_sgpr_dispatch_id 0
		.amdhsa_user_sgpr_private_segment_size 0
		.amdhsa_wavefront_size32 1
		.amdhsa_uses_dynamic_stack 0
		.amdhsa_enable_private_segment 0
		.amdhsa_system_sgpr_workgroup_id_x 1
		.amdhsa_system_sgpr_workgroup_id_y 0
		.amdhsa_system_sgpr_workgroup_id_z 0
		.amdhsa_system_sgpr_workgroup_info 0
		.amdhsa_system_vgpr_workitem_id 0
		.amdhsa_next_free_vgpr 9
		.amdhsa_next_free_sgpr 16
		.amdhsa_reserve_vcc 1
		.amdhsa_float_round_mode_32 0
		.amdhsa_float_round_mode_16_64 0
		.amdhsa_float_denorm_mode_32 3
		.amdhsa_float_denorm_mode_16_64 3
		.amdhsa_dx10_clamp 1
		.amdhsa_ieee_mode 1
		.amdhsa_fp16_overflow 0
		.amdhsa_workgroup_processor_mode 1
		.amdhsa_memory_ordered 1
		.amdhsa_forward_progress 0
		.amdhsa_shared_vgpr_count 0
		.amdhsa_exception_fp_ieee_invalid_op 0
		.amdhsa_exception_fp_denorm_src 0
		.amdhsa_exception_fp_ieee_div_zero 0
		.amdhsa_exception_fp_ieee_overflow 0
		.amdhsa_exception_fp_ieee_underflow 0
		.amdhsa_exception_fp_ieee_inexact 0
		.amdhsa_exception_int_div_zero 0
	.end_amdhsa_kernel
	.section	.text._ZN7rocprim17ROCPRIM_304000_NS6detail31init_lookback_scan_state_kernelINS1_19lookback_scan_stateIN3c107complexIfEELb0ELb1EEEEEvT_jjPNS8_10value_typeE,"axG",@progbits,_ZN7rocprim17ROCPRIM_304000_NS6detail31init_lookback_scan_state_kernelINS1_19lookback_scan_stateIN3c107complexIfEELb0ELb1EEEEEvT_jjPNS8_10value_typeE,comdat
.Lfunc_end73:
	.size	_ZN7rocprim17ROCPRIM_304000_NS6detail31init_lookback_scan_state_kernelINS1_19lookback_scan_stateIN3c107complexIfEELb0ELb1EEEEEvT_jjPNS8_10value_typeE, .Lfunc_end73-_ZN7rocprim17ROCPRIM_304000_NS6detail31init_lookback_scan_state_kernelINS1_19lookback_scan_stateIN3c107complexIfEELb0ELb1EEEEEvT_jjPNS8_10value_typeE
                                        ; -- End function
	.section	.AMDGPU.csdata,"",@progbits
; Kernel info:
; codeLenInByte = 448
; NumSgprs: 18
; NumVgprs: 9
; ScratchSize: 0
; MemoryBound: 0
; FloatMode: 240
; IeeeMode: 1
; LDSByteSize: 0 bytes/workgroup (compile time only)
; SGPRBlocks: 2
; VGPRBlocks: 1
; NumSGPRsForWavesPerEU: 18
; NumVGPRsForWavesPerEU: 9
; Occupancy: 16
; WaveLimiterHint : 0
; COMPUTE_PGM_RSRC2:SCRATCH_EN: 0
; COMPUTE_PGM_RSRC2:USER_SGPR: 15
; COMPUTE_PGM_RSRC2:TRAP_HANDLER: 0
; COMPUTE_PGM_RSRC2:TGID_X_EN: 1
; COMPUTE_PGM_RSRC2:TGID_Y_EN: 0
; COMPUTE_PGM_RSRC2:TGID_Z_EN: 0
; COMPUTE_PGM_RSRC2:TIDIG_COMP_CNT: 0
	.section	.text._ZN7rocprim17ROCPRIM_304000_NS6detail20lookback_scan_kernelILNS1_25lookback_scan_determinismE0ELb0ENS1_19wrapped_scan_configINS0_14default_configEN3c107complexIfEEEEPKS8_PS8_St10multipliesIS8_ES8_S8_NS1_19lookback_scan_stateIS8_Lb1ELb1EEEEEvT2_T3_mT5_T4_T7_jPT6_SN_bb,"axG",@progbits,_ZN7rocprim17ROCPRIM_304000_NS6detail20lookback_scan_kernelILNS1_25lookback_scan_determinismE0ELb0ENS1_19wrapped_scan_configINS0_14default_configEN3c107complexIfEEEEPKS8_PS8_St10multipliesIS8_ES8_S8_NS1_19lookback_scan_stateIS8_Lb1ELb1EEEEEvT2_T3_mT5_T4_T7_jPT6_SN_bb,comdat
	.protected	_ZN7rocprim17ROCPRIM_304000_NS6detail20lookback_scan_kernelILNS1_25lookback_scan_determinismE0ELb0ENS1_19wrapped_scan_configINS0_14default_configEN3c107complexIfEEEEPKS8_PS8_St10multipliesIS8_ES8_S8_NS1_19lookback_scan_stateIS8_Lb1ELb1EEEEEvT2_T3_mT5_T4_T7_jPT6_SN_bb ; -- Begin function _ZN7rocprim17ROCPRIM_304000_NS6detail20lookback_scan_kernelILNS1_25lookback_scan_determinismE0ELb0ENS1_19wrapped_scan_configINS0_14default_configEN3c107complexIfEEEEPKS8_PS8_St10multipliesIS8_ES8_S8_NS1_19lookback_scan_stateIS8_Lb1ELb1EEEEEvT2_T3_mT5_T4_T7_jPT6_SN_bb
	.globl	_ZN7rocprim17ROCPRIM_304000_NS6detail20lookback_scan_kernelILNS1_25lookback_scan_determinismE0ELb0ENS1_19wrapped_scan_configINS0_14default_configEN3c107complexIfEEEEPKS8_PS8_St10multipliesIS8_ES8_S8_NS1_19lookback_scan_stateIS8_Lb1ELb1EEEEEvT2_T3_mT5_T4_T7_jPT6_SN_bb
	.p2align	8
	.type	_ZN7rocprim17ROCPRIM_304000_NS6detail20lookback_scan_kernelILNS1_25lookback_scan_determinismE0ELb0ENS1_19wrapped_scan_configINS0_14default_configEN3c107complexIfEEEEPKS8_PS8_St10multipliesIS8_ES8_S8_NS1_19lookback_scan_stateIS8_Lb1ELb1EEEEEvT2_T3_mT5_T4_T7_jPT6_SN_bb,@function
_ZN7rocprim17ROCPRIM_304000_NS6detail20lookback_scan_kernelILNS1_25lookback_scan_determinismE0ELb0ENS1_19wrapped_scan_configINS0_14default_configEN3c107complexIfEEEEPKS8_PS8_St10multipliesIS8_ES8_S8_NS1_19lookback_scan_stateIS8_Lb1ELb1EEEEEvT2_T3_mT5_T4_T7_jPT6_SN_bb: ; @_ZN7rocprim17ROCPRIM_304000_NS6detail20lookback_scan_kernelILNS1_25lookback_scan_determinismE0ELb0ENS1_19wrapped_scan_configINS0_14default_configEN3c107complexIfEEEEPKS8_PS8_St10multipliesIS8_ES8_S8_NS1_19lookback_scan_stateIS8_Lb1ELb1EEEEEvT2_T3_mT5_T4_T7_jPT6_SN_bb
; %bb.0:
	s_endpgm
	.section	.rodata,"a",@progbits
	.p2align	6, 0x0
	.amdhsa_kernel _ZN7rocprim17ROCPRIM_304000_NS6detail20lookback_scan_kernelILNS1_25lookback_scan_determinismE0ELb0ENS1_19wrapped_scan_configINS0_14default_configEN3c107complexIfEEEEPKS8_PS8_St10multipliesIS8_ES8_S8_NS1_19lookback_scan_stateIS8_Lb1ELb1EEEEEvT2_T3_mT5_T4_T7_jPT6_SN_bb
		.amdhsa_group_segment_fixed_size 0
		.amdhsa_private_segment_fixed_size 0
		.amdhsa_kernarg_size 76
		.amdhsa_user_sgpr_count 15
		.amdhsa_user_sgpr_dispatch_ptr 0
		.amdhsa_user_sgpr_queue_ptr 0
		.amdhsa_user_sgpr_kernarg_segment_ptr 1
		.amdhsa_user_sgpr_dispatch_id 0
		.amdhsa_user_sgpr_private_segment_size 0
		.amdhsa_wavefront_size32 1
		.amdhsa_uses_dynamic_stack 0
		.amdhsa_enable_private_segment 0
		.amdhsa_system_sgpr_workgroup_id_x 1
		.amdhsa_system_sgpr_workgroup_id_y 0
		.amdhsa_system_sgpr_workgroup_id_z 0
		.amdhsa_system_sgpr_workgroup_info 0
		.amdhsa_system_vgpr_workitem_id 0
		.amdhsa_next_free_vgpr 1
		.amdhsa_next_free_sgpr 1
		.amdhsa_reserve_vcc 0
		.amdhsa_float_round_mode_32 0
		.amdhsa_float_round_mode_16_64 0
		.amdhsa_float_denorm_mode_32 3
		.amdhsa_float_denorm_mode_16_64 3
		.amdhsa_dx10_clamp 1
		.amdhsa_ieee_mode 1
		.amdhsa_fp16_overflow 0
		.amdhsa_workgroup_processor_mode 1
		.amdhsa_memory_ordered 1
		.amdhsa_forward_progress 0
		.amdhsa_shared_vgpr_count 0
		.amdhsa_exception_fp_ieee_invalid_op 0
		.amdhsa_exception_fp_denorm_src 0
		.amdhsa_exception_fp_ieee_div_zero 0
		.amdhsa_exception_fp_ieee_overflow 0
		.amdhsa_exception_fp_ieee_underflow 0
		.amdhsa_exception_fp_ieee_inexact 0
		.amdhsa_exception_int_div_zero 0
	.end_amdhsa_kernel
	.section	.text._ZN7rocprim17ROCPRIM_304000_NS6detail20lookback_scan_kernelILNS1_25lookback_scan_determinismE0ELb0ENS1_19wrapped_scan_configINS0_14default_configEN3c107complexIfEEEEPKS8_PS8_St10multipliesIS8_ES8_S8_NS1_19lookback_scan_stateIS8_Lb1ELb1EEEEEvT2_T3_mT5_T4_T7_jPT6_SN_bb,"axG",@progbits,_ZN7rocprim17ROCPRIM_304000_NS6detail20lookback_scan_kernelILNS1_25lookback_scan_determinismE0ELb0ENS1_19wrapped_scan_configINS0_14default_configEN3c107complexIfEEEEPKS8_PS8_St10multipliesIS8_ES8_S8_NS1_19lookback_scan_stateIS8_Lb1ELb1EEEEEvT2_T3_mT5_T4_T7_jPT6_SN_bb,comdat
.Lfunc_end74:
	.size	_ZN7rocprim17ROCPRIM_304000_NS6detail20lookback_scan_kernelILNS1_25lookback_scan_determinismE0ELb0ENS1_19wrapped_scan_configINS0_14default_configEN3c107complexIfEEEEPKS8_PS8_St10multipliesIS8_ES8_S8_NS1_19lookback_scan_stateIS8_Lb1ELb1EEEEEvT2_T3_mT5_T4_T7_jPT6_SN_bb, .Lfunc_end74-_ZN7rocprim17ROCPRIM_304000_NS6detail20lookback_scan_kernelILNS1_25lookback_scan_determinismE0ELb0ENS1_19wrapped_scan_configINS0_14default_configEN3c107complexIfEEEEPKS8_PS8_St10multipliesIS8_ES8_S8_NS1_19lookback_scan_stateIS8_Lb1ELb1EEEEEvT2_T3_mT5_T4_T7_jPT6_SN_bb
                                        ; -- End function
	.section	.AMDGPU.csdata,"",@progbits
; Kernel info:
; codeLenInByte = 4
; NumSgprs: 0
; NumVgprs: 0
; ScratchSize: 0
; MemoryBound: 0
; FloatMode: 240
; IeeeMode: 1
; LDSByteSize: 0 bytes/workgroup (compile time only)
; SGPRBlocks: 0
; VGPRBlocks: 0
; NumSGPRsForWavesPerEU: 1
; NumVGPRsForWavesPerEU: 1
; Occupancy: 16
; WaveLimiterHint : 0
; COMPUTE_PGM_RSRC2:SCRATCH_EN: 0
; COMPUTE_PGM_RSRC2:USER_SGPR: 15
; COMPUTE_PGM_RSRC2:TRAP_HANDLER: 0
; COMPUTE_PGM_RSRC2:TGID_X_EN: 1
; COMPUTE_PGM_RSRC2:TGID_Y_EN: 0
; COMPUTE_PGM_RSRC2:TGID_Z_EN: 0
; COMPUTE_PGM_RSRC2:TIDIG_COMP_CNT: 0
	.section	.text._ZN7rocprim17ROCPRIM_304000_NS6detail20lookback_scan_kernelILNS1_25lookback_scan_determinismE0ELb0ENS1_19wrapped_scan_configINS0_14default_configEN3c107complexIfEEEEPKS8_PS8_St10multipliesIS8_ES8_S8_NS1_19lookback_scan_stateIS8_Lb0ELb1EEEEEvT2_T3_mT5_T4_T7_jPT6_SN_bb,"axG",@progbits,_ZN7rocprim17ROCPRIM_304000_NS6detail20lookback_scan_kernelILNS1_25lookback_scan_determinismE0ELb0ENS1_19wrapped_scan_configINS0_14default_configEN3c107complexIfEEEEPKS8_PS8_St10multipliesIS8_ES8_S8_NS1_19lookback_scan_stateIS8_Lb0ELb1EEEEEvT2_T3_mT5_T4_T7_jPT6_SN_bb,comdat
	.protected	_ZN7rocprim17ROCPRIM_304000_NS6detail20lookback_scan_kernelILNS1_25lookback_scan_determinismE0ELb0ENS1_19wrapped_scan_configINS0_14default_configEN3c107complexIfEEEEPKS8_PS8_St10multipliesIS8_ES8_S8_NS1_19lookback_scan_stateIS8_Lb0ELb1EEEEEvT2_T3_mT5_T4_T7_jPT6_SN_bb ; -- Begin function _ZN7rocprim17ROCPRIM_304000_NS6detail20lookback_scan_kernelILNS1_25lookback_scan_determinismE0ELb0ENS1_19wrapped_scan_configINS0_14default_configEN3c107complexIfEEEEPKS8_PS8_St10multipliesIS8_ES8_S8_NS1_19lookback_scan_stateIS8_Lb0ELb1EEEEEvT2_T3_mT5_T4_T7_jPT6_SN_bb
	.globl	_ZN7rocprim17ROCPRIM_304000_NS6detail20lookback_scan_kernelILNS1_25lookback_scan_determinismE0ELb0ENS1_19wrapped_scan_configINS0_14default_configEN3c107complexIfEEEEPKS8_PS8_St10multipliesIS8_ES8_S8_NS1_19lookback_scan_stateIS8_Lb0ELb1EEEEEvT2_T3_mT5_T4_T7_jPT6_SN_bb
	.p2align	8
	.type	_ZN7rocprim17ROCPRIM_304000_NS6detail20lookback_scan_kernelILNS1_25lookback_scan_determinismE0ELb0ENS1_19wrapped_scan_configINS0_14default_configEN3c107complexIfEEEEPKS8_PS8_St10multipliesIS8_ES8_S8_NS1_19lookback_scan_stateIS8_Lb0ELb1EEEEEvT2_T3_mT5_T4_T7_jPT6_SN_bb,@function
_ZN7rocprim17ROCPRIM_304000_NS6detail20lookback_scan_kernelILNS1_25lookback_scan_determinismE0ELb0ENS1_19wrapped_scan_configINS0_14default_configEN3c107complexIfEEEEPKS8_PS8_St10multipliesIS8_ES8_S8_NS1_19lookback_scan_stateIS8_Lb0ELb1EEEEEvT2_T3_mT5_T4_T7_jPT6_SN_bb: ; @_ZN7rocprim17ROCPRIM_304000_NS6detail20lookback_scan_kernelILNS1_25lookback_scan_determinismE0ELb0ENS1_19wrapped_scan_configINS0_14default_configEN3c107complexIfEEEEPKS8_PS8_St10multipliesIS8_ES8_S8_NS1_19lookback_scan_stateIS8_Lb0ELb1EEEEEvT2_T3_mT5_T4_T7_jPT6_SN_bb
; %bb.0:
	s_clause 0x2
	s_load_b32 s10, s[0:1], 0x30
	s_load_b64 s[2:3], s[0:1], 0x10
	s_load_b128 s[4:7], s[0:1], 0x0
	s_lshl_b32 s8, s15, 12
	s_mov_b32 s9, 0
	v_lshlrev_b32_e32 v106, 3, v0
	v_lshrrev_b32_e32 v35, 2, v0
	v_or_b32_e32 v105, 0x100, v0
	v_or_b32_e32 v104, 0x200, v0
	;; [unrolled: 1-line block ×13, first 2 shown]
	s_waitcnt lgkmcnt(0)
	s_add_i32 s10, s10, -1
	v_or_b32_e32 v92, 0xe00, v0
	s_lshl_b32 s11, s10, 12
	v_or_b32_e32 v91, 0xf00, v0
	s_sub_u32 s14, s2, s11
	s_subb_u32 s16, s3, 0
	s_cmp_lg_u32 s15, s10
	s_mov_b32 s3, -1
	s_cselect_b32 s17, -1, 0
	s_lshl_b64 s[12:13], s[8:9], 3
	s_delay_alu instid0(SALU_CYCLE_1)
	s_add_u32 s8, s4, s12
	s_addc_u32 s9, s5, s13
	s_and_b32 vcc_lo, exec_lo, s17
	s_cbranch_vccz .LBB75_2
; %bb.1:
	v_add_co_u32 v27, s2, s8, v106
	s_delay_alu instid0(VALU_DEP_1)
	v_add_co_ci_u32_e64 v28, null, s9, 0, s2
	s_clause 0x1
	global_load_b64 v[1:2], v106, s[8:9]
	global_load_b64 v[3:4], v106, s[8:9] offset:2048
	v_add_co_u32 v5, vcc_lo, 0x1000, v27
	v_add_co_ci_u32_e32 v6, vcc_lo, 0, v28, vcc_lo
	v_add_co_u32 v7, vcc_lo, v27, 0x2000
	v_add_co_ci_u32_e32 v8, vcc_lo, 0, v28, vcc_lo
	v_add_co_u32 v9, vcc_lo, 0x2000, v27
	v_add_co_ci_u32_e32 v10, vcc_lo, 0, v28, vcc_lo
	v_add_co_u32 v11, vcc_lo, 0x3000, v27
	v_add_co_ci_u32_e32 v12, vcc_lo, 0, v28, vcc_lo
	v_add_co_u32 v13, vcc_lo, v27, 0x4000
	v_add_co_ci_u32_e32 v14, vcc_lo, 0, v28, vcc_lo
	v_add_co_u32 v15, vcc_lo, 0x4000, v27
	v_add_co_ci_u32_e32 v16, vcc_lo, 0, v28, vcc_lo
	v_add_co_u32 v21, vcc_lo, 0x5000, v27
	v_add_co_ci_u32_e32 v22, vcc_lo, 0, v28, vcc_lo
	v_add_co_u32 v23, vcc_lo, v27, 0x6000
	v_add_co_ci_u32_e32 v24, vcc_lo, 0, v28, vcc_lo
	v_add_co_u32 v25, vcc_lo, 0x6000, v27
	v_add_co_ci_u32_e32 v26, vcc_lo, 0, v28, vcc_lo
	v_add_co_u32 v27, vcc_lo, 0x7000, v27
	v_add_co_ci_u32_e32 v28, vcc_lo, 0, v28, vcc_lo
	s_clause 0xd
	global_load_b64 v[17:18], v[7:8], off offset:-4096
	global_load_b64 v[7:8], v[7:8], off
	global_load_b64 v[19:20], v[13:14], off offset:-4096
	global_load_b64 v[13:14], v[13:14], off
	global_load_b64 v[5:6], v[5:6], off offset:2048
	global_load_b64 v[9:10], v[9:10], off offset:2048
	;; [unrolled: 1-line block ×4, first 2 shown]
	global_load_b64 v[29:30], v[23:24], off offset:-4096
	global_load_b64 v[21:22], v[21:22], off offset:2048
	global_load_b64 v[23:24], v[23:24], off
	global_load_b64 v[25:26], v[25:26], off offset:2048
	global_load_b64 v[31:32], v[27:28], off
	global_load_b64 v[27:28], v[27:28], off offset:2048
	v_lshrrev_b32_e32 v34, 2, v105
	v_lshrrev_b32_e32 v36, 2, v104
	;; [unrolled: 1-line block ×4, first 2 shown]
	v_and_b32_e32 v33, 56, v35
	v_lshrrev_b32_e32 v39, 2, v101
	v_lshrrev_b32_e32 v40, 2, v100
	;; [unrolled: 1-line block ×11, first 2 shown]
	v_and_b32_e32 v34, 0x78, v34
	v_and_b32_e32 v36, 0xb8, v36
	;; [unrolled: 1-line block ×4, first 2 shown]
	v_add_nc_u32_e32 v33, v33, v106
	v_and_b32_e32 v39, 0x178, v39
	v_and_b32_e32 v40, 0x1b8, v40
	;; [unrolled: 1-line block ×11, first 2 shown]
	v_add_nc_u32_e32 v34, v34, v106
	v_add_nc_u32_e32 v36, v36, v106
	;; [unrolled: 1-line block ×4, first 2 shown]
	s_mov_b32 s3, 0
	v_add_nc_u32_e32 v39, v39, v106
	v_add_nc_u32_e32 v40, v40, v106
	;; [unrolled: 1-line block ×11, first 2 shown]
	s_waitcnt vmcnt(15)
	ds_store_b64 v33, v[1:2]
	s_waitcnt vmcnt(14)
	ds_store_b64 v34, v[3:4] offset:2048
	s_waitcnt vmcnt(13)
	ds_store_b64 v36, v[17:18] offset:4096
	;; [unrolled: 2-line block ×3, first 2 shown]
	ds_store_b64 v38, v[7:8] offset:8192
	s_waitcnt vmcnt(8)
	ds_store_b64 v39, v[9:10] offset:10240
	ds_store_b64 v40, v[19:20] offset:12288
	s_waitcnt vmcnt(7)
	ds_store_b64 v41, v[11:12] offset:14336
	;; [unrolled: 3-line block ×3, first 2 shown]
	s_waitcnt vmcnt(5)
	ds_store_b64 v44, v[29:30] offset:20480
	s_waitcnt vmcnt(4)
	ds_store_b64 v45, v[21:22] offset:22528
	;; [unrolled: 2-line block ×6, first 2 shown]
	s_waitcnt lgkmcnt(0)
	s_barrier
.LBB75_2:
	v_cmp_gt_u32_e64 s2, s14, v0
	s_and_not1_b32 vcc_lo, exec_lo, s3
	s_cbranch_vccnz .LBB75_36
; %bb.3:
	s_load_b64 s[4:5], s[8:9], 0x0
	v_add_co_u32 v7, s3, s8, v106
	s_delay_alu instid0(VALU_DEP_1)
	v_add_co_ci_u32_e64 v8, null, s9, 0, s3
	s_waitcnt lgkmcnt(0)
	v_dual_mov_b32 v2, s5 :: v_dual_mov_b32 v1, s4
	s_and_saveexec_b32 s3, s2
	s_cbranch_execz .LBB75_5
; %bb.4:
	global_load_b64 v[1:2], v[7:8], off
.LBB75_5:
	s_or_b32 exec_lo, exec_lo, s3
	v_dual_mov_b32 v4, s5 :: v_dual_mov_b32 v3, s4
	s_mov_b32 s2, exec_lo
	v_cmpx_gt_u32_e64 s14, v105
	s_cbranch_execz .LBB75_7
; %bb.6:
	global_load_b64 v[3:4], v[7:8], off offset:2048
.LBB75_7:
	s_or_b32 exec_lo, exec_lo, s2
	v_dual_mov_b32 v6, s5 :: v_dual_mov_b32 v5, s4
	s_mov_b32 s2, exec_lo
	v_cmpx_gt_u32_e64 s14, v104
	s_cbranch_execz .LBB75_9
; %bb.8:
	v_add_co_u32 v5, vcc_lo, 0x1000, v7
	v_add_co_ci_u32_e32 v6, vcc_lo, 0, v8, vcc_lo
	global_load_b64 v[5:6], v[5:6], off
.LBB75_9:
	s_or_b32 exec_lo, exec_lo, s2
	v_dual_mov_b32 v12, s5 :: v_dual_mov_b32 v11, s4
	s_mov_b32 s2, exec_lo
	v_cmpx_gt_u32_e64 s14, v103
	s_cbranch_execz .LBB75_11
; %bb.10:
	v_add_co_u32 v9, vcc_lo, 0x1000, v7
	v_add_co_ci_u32_e32 v10, vcc_lo, 0, v8, vcc_lo
	global_load_b64 v[11:12], v[9:10], off offset:2048
.LBB75_11:
	s_or_b32 exec_lo, exec_lo, s2
	v_dual_mov_b32 v10, s5 :: v_dual_mov_b32 v9, s4
	s_mov_b32 s2, exec_lo
	v_cmpx_gt_u32_e64 s14, v102
	s_cbranch_execz .LBB75_13
; %bb.12:
	v_add_co_u32 v9, vcc_lo, 0x2000, v7
	v_add_co_ci_u32_e32 v10, vcc_lo, 0, v8, vcc_lo
	global_load_b64 v[9:10], v[9:10], off
.LBB75_13:
	s_or_b32 exec_lo, exec_lo, s2
	v_dual_mov_b32 v14, s5 :: v_dual_mov_b32 v13, s4
	s_mov_b32 s2, exec_lo
	v_cmpx_gt_u32_e64 s14, v101
	s_cbranch_execz .LBB75_15
; %bb.14:
	v_add_co_u32 v13, vcc_lo, 0x2000, v7
	v_add_co_ci_u32_e32 v14, vcc_lo, 0, v8, vcc_lo
	global_load_b64 v[13:14], v[13:14], off offset:2048
.LBB75_15:
	;; [unrolled: 20-line block ×7, first 2 shown]
	s_or_b32 exec_lo, exec_lo, s2
	v_lshrrev_b32_e32 v7, 2, v105
	v_lshrrev_b32_e32 v8, 2, v104
	;; [unrolled: 1-line block ×3, first 2 shown]
	v_and_b32_e32 v35, 56, v35
	v_lshrrev_b32_e32 v37, 2, v102
	v_and_b32_e32 v7, 0x78, v7
	v_and_b32_e32 v8, 0xf8, v8
	;; [unrolled: 1-line block ×3, first 2 shown]
	v_lshrrev_b32_e32 v38, 2, v101
	v_add_nc_u32_e32 v35, v35, v106
	v_add_nc_u32_e32 v7, v7, v106
	v_lshrrev_b32_e32 v39, 2, v100
	v_add_nc_u32_e32 v8, v8, v106
	v_lshrrev_b32_e32 v40, 2, v99
	v_add_nc_u32_e32 v36, v36, v106
	v_and_b32_e32 v37, 0x1f8, v37
	v_and_b32_e32 v38, 0x1f8, v38
	s_waitcnt vmcnt(0)
	ds_store_b64 v35, v[1:2]
	ds_store_b64 v7, v[3:4] offset:2048
	ds_store_b64 v8, v[5:6] offset:4096
	;; [unrolled: 1-line block ×3, first 2 shown]
	v_lshrrev_b32_e32 v5, 2, v98
	v_and_b32_e32 v3, 0x1f8, v39
	v_lshrrev_b32_e32 v6, 2, v97
	v_lshrrev_b32_e32 v7, 2, v96
	v_and_b32_e32 v4, 0x1f8, v40
	v_add_nc_u32_e32 v1, v37, v106
	v_add_nc_u32_e32 v2, v38, v106
	v_and_b32_e32 v5, 0x3f8, v5
	v_add_nc_u32_e32 v3, v3, v106
	v_and_b32_e32 v6, 0x3f8, v6
	v_and_b32_e32 v7, 0x3f8, v7
	v_add_nc_u32_e32 v4, v4, v106
	ds_store_b64 v1, v[9:10] offset:8192
	ds_store_b64 v2, v[13:14] offset:10240
	;; [unrolled: 1-line block ×4, first 2 shown]
	v_lshrrev_b32_e32 v4, 2, v95
	v_add_nc_u32_e32 v1, v5, v106
	v_lshrrev_b32_e32 v5, 2, v94
	v_add_nc_u32_e32 v2, v6, v106
	v_add_nc_u32_e32 v3, v7, v106
	v_lshrrev_b32_e32 v6, 2, v93
	v_lshrrev_b32_e32 v7, 2, v92
	;; [unrolled: 1-line block ×3, first 2 shown]
	v_and_b32_e32 v4, 0x3f8, v4
	v_and_b32_e32 v5, 0x3f8, v5
	v_and_b32_e32 v6, 0x3f8, v6
	v_and_b32_e32 v7, 0x3f8, v7
	v_and_b32_e32 v8, 0x3f8, v8
	v_add_nc_u32_e32 v4, v4, v106
	v_add_nc_u32_e32 v5, v5, v106
	;; [unrolled: 1-line block ×5, first 2 shown]
	ds_store_b64 v1, v[17:18] offset:16384
	ds_store_b64 v2, v[21:22] offset:18432
	;; [unrolled: 1-line block ×8, first 2 shown]
	s_waitcnt lgkmcnt(0)
	s_barrier
.LBB75_36:
	v_lshlrev_b32_e32 v1, 4, v0
	v_lshrrev_b32_e32 v108, 1, v0
	buffer_gl0_inv
	s_load_b64 s[4:5], s[0:1], 0x28
	v_lshrrev_b32_e32 v107, 5, v0
	v_cmp_gt_u32_e32 vcc_lo, 32, v0
	v_add_lshl_u32 v1, v108, v1, 3
	s_cmp_lg_u32 s15, 0
	ds_load_2addr_b64 v[5:8], v1 offset0:14 offset1:15
	ds_load_2addr_b64 v[9:12], v1 offset0:12 offset1:13
	;; [unrolled: 1-line block ×7, first 2 shown]
	ds_load_2addr_b64 v[1:4], v1 offset1:1
	s_waitcnt lgkmcnt(0)
	s_barrier
	buffer_gl0_inv
	s_cbranch_scc0 .LBB75_85
; %bb.37:
	v_mul_f32_e32 v33, v4, v2
	v_mul_f32_e32 v34, v3, v2
	s_delay_alu instid0(VALU_DEP_2) | instskip(NEXT) | instid1(VALU_DEP_1)
	v_fma_f32 v33, v3, v1, -v33
	v_dual_fmac_f32 v34, v4, v1 :: v_dual_mul_f32 v35, v33, v30
	s_delay_alu instid0(VALU_DEP_1) | instskip(NEXT) | instid1(VALU_DEP_1)
	v_mul_f32_e32 v36, v34, v30
	v_fma_f32 v33, v33, v29, -v36
	s_delay_alu instid0(VALU_DEP_1) | instskip(NEXT) | instid1(VALU_DEP_1)
	v_dual_fmac_f32 v35, v34, v29 :: v_dual_mul_f32 v36, v33, v32
	v_mul_f32_e32 v34, v35, v32
	s_delay_alu instid0(VALU_DEP_2) | instskip(NEXT) | instid1(VALU_DEP_2)
	v_fmac_f32_e32 v36, v35, v31
	v_fma_f32 v33, v33, v31, -v34
	s_delay_alu instid0(VALU_DEP_2) | instskip(NEXT) | instid1(VALU_DEP_2)
	v_mul_f32_e32 v35, v36, v26
	v_mul_f32_e32 v34, v33, v26
	s_delay_alu instid0(VALU_DEP_2) | instskip(NEXT) | instid1(VALU_DEP_2)
	v_fma_f32 v33, v33, v25, -v35
	v_fmac_f32_e32 v34, v36, v25
	s_delay_alu instid0(VALU_DEP_2) | instskip(NEXT) | instid1(VALU_DEP_2)
	v_mul_f32_e32 v36, v33, v28
	v_mul_f32_e32 v35, v34, v28
	s_delay_alu instid0(VALU_DEP_2) | instskip(NEXT) | instid1(VALU_DEP_2)
	v_fmac_f32_e32 v36, v34, v27
	v_fma_f32 v33, v33, v27, -v35
	s_delay_alu instid0(VALU_DEP_2) | instskip(NEXT) | instid1(VALU_DEP_2)
	v_mul_f32_e32 v35, v36, v22
	v_mul_f32_e32 v34, v33, v22
	s_delay_alu instid0(VALU_DEP_2) | instskip(NEXT) | instid1(VALU_DEP_2)
	v_fma_f32 v33, v33, v21, -v35
	v_fmac_f32_e32 v34, v36, v21
	s_delay_alu instid0(VALU_DEP_2) | instskip(NEXT) | instid1(VALU_DEP_2)
	v_mul_f32_e32 v36, v33, v24
	v_mul_f32_e32 v35, v34, v24
	s_delay_alu instid0(VALU_DEP_2) | instskip(NEXT) | instid1(VALU_DEP_2)
	v_fmac_f32_e32 v36, v34, v23
	v_fma_f32 v33, v33, v23, -v35
	s_delay_alu instid0(VALU_DEP_2) | instskip(NEXT) | instid1(VALU_DEP_2)
	v_mul_f32_e32 v35, v36, v18
	v_mul_f32_e32 v34, v33, v18
	s_delay_alu instid0(VALU_DEP_2) | instskip(NEXT) | instid1(VALU_DEP_2)
	v_fma_f32 v33, v33, v17, -v35
	v_fmac_f32_e32 v34, v36, v17
	s_delay_alu instid0(VALU_DEP_2) | instskip(NEXT) | instid1(VALU_DEP_2)
	v_mul_f32_e32 v36, v33, v20
	v_mul_f32_e32 v35, v34, v20
	s_delay_alu instid0(VALU_DEP_2) | instskip(NEXT) | instid1(VALU_DEP_2)
	v_fmac_f32_e32 v36, v34, v19
	v_fma_f32 v33, v33, v19, -v35
	s_delay_alu instid0(VALU_DEP_2) | instskip(NEXT) | instid1(VALU_DEP_2)
	v_mul_f32_e32 v35, v36, v14
	v_mul_f32_e32 v34, v33, v14
	s_delay_alu instid0(VALU_DEP_2) | instskip(NEXT) | instid1(VALU_DEP_2)
	v_fma_f32 v33, v33, v13, -v35
	v_fmac_f32_e32 v34, v36, v13
	s_delay_alu instid0(VALU_DEP_2) | instskip(NEXT) | instid1(VALU_DEP_2)
	v_mul_f32_e32 v36, v33, v16
	v_mul_f32_e32 v35, v34, v16
	s_delay_alu instid0(VALU_DEP_2) | instskip(NEXT) | instid1(VALU_DEP_2)
	v_fmac_f32_e32 v36, v34, v15
	v_fma_f32 v33, v33, v15, -v35
	s_delay_alu instid0(VALU_DEP_2) | instskip(NEXT) | instid1(VALU_DEP_2)
	v_mul_f32_e32 v35, v36, v10
	v_mul_f32_e32 v34, v33, v10
	s_delay_alu instid0(VALU_DEP_2) | instskip(NEXT) | instid1(VALU_DEP_2)
	v_fma_f32 v33, v33, v9, -v35
	v_fmac_f32_e32 v34, v36, v9
	s_delay_alu instid0(VALU_DEP_2) | instskip(NEXT) | instid1(VALU_DEP_2)
	v_mul_f32_e32 v36, v33, v12
	v_mul_f32_e32 v35, v34, v12
	s_delay_alu instid0(VALU_DEP_2) | instskip(NEXT) | instid1(VALU_DEP_2)
	v_fmac_f32_e32 v36, v34, v11
	v_fma_f32 v33, v33, v11, -v35
	s_delay_alu instid0(VALU_DEP_2) | instskip(NEXT) | instid1(VALU_DEP_2)
	v_mul_f32_e32 v35, v36, v6
	v_mul_f32_e32 v34, v33, v6
	s_delay_alu instid0(VALU_DEP_2) | instskip(NEXT) | instid1(VALU_DEP_2)
	v_fma_f32 v33, v33, v5, -v35
	v_fmac_f32_e32 v34, v36, v5
	v_add_lshl_u32 v36, v107, v0, 3
	s_delay_alu instid0(VALU_DEP_3) | instskip(NEXT) | instid1(VALU_DEP_3)
	v_mul_f32_e32 v50, v8, v33
	v_mul_f32_e32 v35, v8, v34
	s_delay_alu instid0(VALU_DEP_2) | instskip(NEXT) | instid1(VALU_DEP_2)
	v_fmac_f32_e32 v50, v7, v34
	v_fma_f32 v49, v7, v33, -v35
	ds_store_b64 v36, v[49:50]
	s_waitcnt lgkmcnt(0)
	s_barrier
	buffer_gl0_inv
	s_and_saveexec_b32 s3, vcc_lo
	s_cbranch_execz .LBB75_47
; %bb.38:
	v_lshlrev_b32_e32 v33, 1, v0
	s_mov_b32 s8, exec_lo
	s_delay_alu instid0(VALU_DEP_1) | instskip(NEXT) | instid1(VALU_DEP_1)
	v_and_b32_e32 v33, 0x1f8, v33
	v_lshl_or_b32 v51, v0, 6, v33
	ds_load_2addr_b64 v[45:48], v51 offset1:1
	ds_load_2addr_b64 v[41:44], v51 offset0:2 offset1:3
	s_waitcnt lgkmcnt(1)
	v_mul_f32_e32 v33, v46, v48
	v_mul_f32_e32 v37, v45, v48
	s_delay_alu instid0(VALU_DEP_2) | instskip(SKIP_4) | instid1(VALU_DEP_2)
	v_fma_f32 v38, v45, v47, -v33
	ds_load_2addr_b64 v[33:36], v51 offset0:4 offset1:5
	v_fmac_f32_e32 v37, v46, v47
	s_waitcnt lgkmcnt(1)
	v_mul_f32_e32 v39, v38, v42
	v_mul_f32_e32 v40, v37, v42
	s_delay_alu instid0(VALU_DEP_2) | instskip(NEXT) | instid1(VALU_DEP_2)
	v_fmac_f32_e32 v39, v41, v37
	v_fma_f32 v37, v41, v38, -v40
	s_delay_alu instid0(VALU_DEP_2) | instskip(NEXT) | instid1(VALU_DEP_2)
	v_mul_f32_e32 v38, v39, v44
	v_mul_f32_e32 v52, v37, v44
	s_delay_alu instid0(VALU_DEP_2) | instskip(NEXT) | instid1(VALU_DEP_2)
	v_fma_f32 v53, v43, v37, -v38
	v_fmac_f32_e32 v52, v43, v39
	ds_load_2addr_b64 v[37:40], v51 offset0:6 offset1:7
	s_waitcnt lgkmcnt(1)
	v_mul_f32_e32 v54, v53, v34
	s_delay_alu instid0(VALU_DEP_1) | instskip(NEXT) | instid1(VALU_DEP_1)
	v_dual_mul_f32 v55, v52, v34 :: v_dual_fmac_f32 v54, v33, v52
	v_fma_f32 v52, v33, v53, -v55
	s_delay_alu instid0(VALU_DEP_1) | instskip(NEXT) | instid1(VALU_DEP_1)
	v_mul_f32_e32 v55, v52, v36
	v_fmac_f32_e32 v55, v35, v54
	v_mul_f32_e32 v53, v54, v36
	s_delay_alu instid0(VALU_DEP_1) | instskip(SKIP_1) | instid1(VALU_DEP_3)
	v_fma_f32 v52, v35, v52, -v53
	s_waitcnt lgkmcnt(0)
	v_mul_f32_e32 v53, v55, v38
	s_delay_alu instid0(VALU_DEP_2) | instskip(NEXT) | instid1(VALU_DEP_2)
	v_mul_f32_e32 v56, v52, v38
	v_fma_f32 v52, v37, v52, -v53
	v_mbcnt_lo_u32_b32 v53, -1, 0
	s_delay_alu instid0(VALU_DEP_3) | instskip(NEXT) | instid1(VALU_DEP_3)
	v_fmac_f32_e32 v56, v37, v55
	v_mul_f32_e32 v54, v52, v40
	s_delay_alu instid0(VALU_DEP_2) | instskip(NEXT) | instid1(VALU_DEP_2)
	v_mul_f32_e32 v55, v56, v40
	v_fmac_f32_e32 v54, v39, v56
	s_delay_alu instid0(VALU_DEP_2) | instskip(SKIP_1) | instid1(VALU_DEP_3)
	v_fma_f32 v52, v39, v52, -v55
	v_and_b32_e32 v55, 15, v53
	v_mov_b32_dpp v57, v54 row_shr:1 row_mask:0xf bank_mask:0xf
	s_delay_alu instid0(VALU_DEP_3) | instskip(NEXT) | instid1(VALU_DEP_3)
	v_mov_b32_dpp v56, v52 row_shr:1 row_mask:0xf bank_mask:0xf
	v_cmpx_ne_u32_e32 0, v55
; %bb.39:
	s_delay_alu instid0(VALU_DEP_3) | instskip(SKIP_1) | instid1(VALU_DEP_2)
	v_mul_f32_e32 v58, v52, v57
	v_mul_f32_e32 v57, v54, v57
	v_fmac_f32_e32 v58, v54, v56
	s_delay_alu instid0(VALU_DEP_2) | instskip(NEXT) | instid1(VALU_DEP_2)
	v_fma_f32 v52, v52, v56, -v57
	v_mov_b32_e32 v54, v58
; %bb.40:
	s_or_b32 exec_lo, exec_lo, s8
	s_delay_alu instid0(VALU_DEP_2) | instskip(NEXT) | instid1(VALU_DEP_2)
	v_mov_b32_dpp v56, v52 row_shr:2 row_mask:0xf bank_mask:0xf
	v_mov_b32_dpp v57, v54 row_shr:2 row_mask:0xf bank_mask:0xf
	s_mov_b32 s8, exec_lo
	v_cmpx_lt_u32_e32 1, v55
; %bb.41:
	s_delay_alu instid0(VALU_DEP_2) | instskip(SKIP_1) | instid1(VALU_DEP_2)
	v_mul_f32_e32 v58, v52, v57
	v_mul_f32_e32 v57, v54, v57
	v_fmac_f32_e32 v58, v54, v56
	s_delay_alu instid0(VALU_DEP_2) | instskip(NEXT) | instid1(VALU_DEP_2)
	v_fma_f32 v52, v52, v56, -v57
	v_mov_b32_e32 v54, v58
; %bb.42:
	s_or_b32 exec_lo, exec_lo, s8
	s_delay_alu instid0(VALU_DEP_2) | instskip(NEXT) | instid1(VALU_DEP_2)
	v_mov_b32_dpp v56, v52 row_shr:4 row_mask:0xf bank_mask:0xf
	v_mov_b32_dpp v57, v54 row_shr:4 row_mask:0xf bank_mask:0xf
	s_mov_b32 s8, exec_lo
	v_cmpx_lt_u32_e32 3, v55
; %bb.43:
	s_delay_alu instid0(VALU_DEP_2) | instskip(SKIP_1) | instid1(VALU_DEP_2)
	v_mul_f32_e32 v58, v52, v57
	v_mul_f32_e32 v57, v54, v57
	v_fmac_f32_e32 v58, v54, v56
	s_delay_alu instid0(VALU_DEP_2) | instskip(NEXT) | instid1(VALU_DEP_2)
	v_fma_f32 v52, v52, v56, -v57
	v_mov_b32_e32 v54, v58
; %bb.44:
	s_or_b32 exec_lo, exec_lo, s8
	s_delay_alu instid0(VALU_DEP_2) | instskip(NEXT) | instid1(VALU_DEP_2)
	v_mov_b32_dpp v56, v52 row_shr:8 row_mask:0xf bank_mask:0xf
	v_mov_b32_dpp v57, v54 row_shr:8 row_mask:0xf bank_mask:0xf
	s_mov_b32 s8, exec_lo
	v_cmpx_lt_u32_e32 7, v55
; %bb.45:
	s_delay_alu instid0(VALU_DEP_2) | instskip(NEXT) | instid1(VALU_DEP_1)
	v_mul_f32_e32 v55, v52, v57
	v_fmac_f32_e32 v55, v54, v56
	s_delay_alu instid0(VALU_DEP_1) | instskip(NEXT) | instid1(VALU_DEP_1)
	v_dual_mul_f32 v57, v54, v57 :: v_dual_mov_b32 v54, v55
	v_fma_f32 v52, v52, v56, -v57
; %bb.46:
	s_or_b32 exec_lo, exec_lo, s8
	ds_swizzle_b32 v55, v54 offset:swizzle(BROADCAST,32,15)
	ds_swizzle_b32 v56, v52 offset:swizzle(BROADCAST,32,15)
	s_waitcnt lgkmcnt(1)
	v_dual_mul_f32 v58, v52, v55 :: v_dual_add_nc_u32 v57, -1, v53
	v_and_b32_e32 v59, 16, v53
	s_delay_alu instid0(VALU_DEP_2) | instskip(SKIP_3) | instid1(VALU_DEP_3)
	v_cmp_gt_i32_e64 s2, 0, v57
	v_mul_f32_e32 v55, v54, v55
	s_waitcnt lgkmcnt(0)
	v_fmac_f32_e32 v58, v54, v56
	v_cndmask_b32_e64 v53, v57, v53, s2
	v_cmp_eq_u32_e64 s2, 0, v59
	v_fma_f32 v55, v52, v56, -v55
	s_delay_alu instid0(VALU_DEP_3) | instskip(NEXT) | instid1(VALU_DEP_3)
	v_lshlrev_b32_e32 v53, 2, v53
	v_cndmask_b32_e64 v54, v58, v54, s2
	s_delay_alu instid0(VALU_DEP_3)
	v_cndmask_b32_e64 v52, v55, v52, s2
	v_cmp_eq_u32_e64 s2, 0, v0
	ds_bpermute_b32 v54, v53, v54
	ds_bpermute_b32 v52, v53, v52
	s_waitcnt lgkmcnt(1)
	v_mul_f32_e32 v53, v46, v54
	v_mul_f32_e32 v54, v45, v54
	s_waitcnt lgkmcnt(0)
	s_delay_alu instid0(VALU_DEP_2) | instskip(NEXT) | instid1(VALU_DEP_2)
	v_fma_f32 v45, v45, v52, -v53
	v_fmac_f32_e32 v54, v46, v52
	s_delay_alu instid0(VALU_DEP_2) | instskip(NEXT) | instid1(VALU_DEP_2)
	v_cndmask_b32_e64 v45, v45, v49, s2
	v_cndmask_b32_e64 v46, v54, v50, s2
	s_delay_alu instid0(VALU_DEP_1) | instskip(NEXT) | instid1(VALU_DEP_1)
	v_mul_f32_e32 v52, v48, v46
	v_fma_f32 v52, v47, v45, -v52
	s_delay_alu instid0(VALU_DEP_1) | instskip(NEXT) | instid1(VALU_DEP_1)
	v_dual_mul_f32 v53, v48, v45 :: v_dual_mul_f32 v48, v42, v52
	v_fmac_f32_e32 v53, v47, v46
	s_delay_alu instid0(VALU_DEP_1) | instskip(SKIP_1) | instid1(VALU_DEP_1)
	v_fmac_f32_e32 v48, v41, v53
	v_mul_f32_e32 v42, v42, v53
	v_fma_f32 v47, v41, v52, -v42
	s_delay_alu instid0(VALU_DEP_3) | instskip(NEXT) | instid1(VALU_DEP_2)
	v_mul_f32_e32 v41, v44, v48
	v_mul_f32_e32 v42, v44, v47
	s_delay_alu instid0(VALU_DEP_2) | instskip(NEXT) | instid1(VALU_DEP_2)
	v_fma_f32 v41, v43, v47, -v41
	v_fmac_f32_e32 v42, v43, v48
	s_delay_alu instid0(VALU_DEP_2) | instskip(NEXT) | instid1(VALU_DEP_2)
	v_mul_f32_e32 v44, v34, v41
	v_mul_f32_e32 v34, v34, v42
	s_delay_alu instid0(VALU_DEP_2) | instskip(NEXT) | instid1(VALU_DEP_2)
	v_fmac_f32_e32 v44, v33, v42
	v_fma_f32 v43, v33, v41, -v34
	s_delay_alu instid0(VALU_DEP_2) | instskip(NEXT) | instid1(VALU_DEP_2)
	v_mul_f32_e32 v33, v36, v44
	v_mul_f32_e32 v34, v36, v43
	s_delay_alu instid0(VALU_DEP_2) | instskip(NEXT) | instid1(VALU_DEP_2)
	v_fma_f32 v33, v35, v43, -v33
	v_fmac_f32_e32 v34, v35, v44
	s_delay_alu instid0(VALU_DEP_2) | instskip(NEXT) | instid1(VALU_DEP_2)
	v_mul_f32_e32 v36, v38, v33
	v_mul_f32_e32 v35, v38, v34
	s_delay_alu instid0(VALU_DEP_2) | instskip(NEXT) | instid1(VALU_DEP_2)
	v_fmac_f32_e32 v36, v37, v34
	v_fma_f32 v35, v37, v33, -v35
	s_delay_alu instid0(VALU_DEP_2) | instskip(NEXT) | instid1(VALU_DEP_2)
	v_mul_f32_e32 v37, v40, v36
	v_mul_f32_e32 v38, v40, v35
	s_delay_alu instid0(VALU_DEP_2) | instskip(NEXT) | instid1(VALU_DEP_2)
	v_fma_f32 v37, v39, v35, -v37
	v_fmac_f32_e32 v38, v39, v36
	ds_store_2addr_b64 v51, v[45:46], v[52:53] offset1:1
	ds_store_2addr_b64 v51, v[47:48], v[41:42] offset0:2 offset1:3
	ds_store_2addr_b64 v51, v[43:44], v[33:34] offset0:4 offset1:5
	;; [unrolled: 1-line block ×3, first 2 shown]
.LBB75_47:
	s_or_b32 exec_lo, exec_lo, s3
	v_cmp_eq_u32_e64 s2, 0, v0
	s_mov_b32 s8, exec_lo
	s_waitcnt lgkmcnt(0)
	s_barrier
	buffer_gl0_inv
	v_cmpx_ne_u32_e32 0, v0
	s_cbranch_execz .LBB75_49
; %bb.48:
	v_add_nc_u32_e32 v33, -1, v0
	s_delay_alu instid0(VALU_DEP_1) | instskip(NEXT) | instid1(VALU_DEP_1)
	v_lshrrev_b32_e32 v34, 5, v33
	v_add_lshl_u32 v33, v34, v33, 3
	ds_load_b64 v[49:50], v33
.LBB75_49:
	s_or_b32 exec_lo, exec_lo, s8
	s_and_saveexec_b32 s10, vcc_lo
	s_cbranch_execz .LBB75_84
; %bb.50:
	v_mov_b32_e32 v36, 0
	v_mbcnt_lo_u32_b32 v41, -1, 0
	s_mov_b32 s9, 0
	ds_load_b64 v[33:34], v36 offset:2096
	v_cmp_eq_u32_e64 s3, 0, v41
	s_waitcnt lgkmcnt(0)
	v_readfirstlane_b32 s11, v34
	s_delay_alu instid0(VALU_DEP_2)
	s_and_saveexec_b32 s18, s3
	s_cbranch_execz .LBB75_52
; %bb.51:
	s_add_i32 s8, s15, 32
	s_mov_b32 s22, s9
	s_lshl_b64 s[20:21], s[8:9], 4
	s_mov_b32 s24, s9
	s_add_u32 s20, s4, s20
	s_addc_u32 s21, s5, s21
	s_and_b32 s23, s11, 0xff000000
	s_and_b32 s25, s11, 0xff0000
	v_dual_mov_b32 v38, s21 :: v_dual_mov_b32 v37, s20
	s_or_b64 s[22:23], s[24:25], s[22:23]
	s_and_b32 s25, s11, 0xff00
	v_mov_b32_e32 v35, 1
	s_or_b64 s[22:23], s[22:23], s[24:25]
	s_and_b32 s25, s11, 0xff
	s_delay_alu instid0(SALU_CYCLE_1) | instskip(NEXT) | instid1(SALU_CYCLE_1)
	s_or_b64 s[8:9], s[22:23], s[24:25]
	v_mov_b32_e32 v34, s9
	;;#ASMSTART
	global_store_dwordx4 v[37:38], v[33:36] off	
s_waitcnt vmcnt(0)
	;;#ASMEND
.LBB75_52:
	s_or_b32 exec_lo, exec_lo, s18
	v_xad_u32 v38, v41, -1, s15
	s_mov_b32 s8, exec_lo
	s_delay_alu instid0(VALU_DEP_1) | instskip(NEXT) | instid1(VALU_DEP_1)
	v_add_nc_u32_e32 v35, 32, v38
	v_lshlrev_b64 v[34:35], 4, v[35:36]
	s_delay_alu instid0(VALU_DEP_1) | instskip(NEXT) | instid1(VALU_DEP_2)
	v_add_co_u32 v39, vcc_lo, s4, v34
	v_add_co_ci_u32_e32 v40, vcc_lo, s5, v35, vcc_lo
	;;#ASMSTART
	global_load_dwordx4 v[34:37], v[39:40] off glc	
s_waitcnt vmcnt(0)
	;;#ASMEND
	v_and_b32_e32 v37, 0xff, v36
	s_delay_alu instid0(VALU_DEP_1)
	v_cmpx_eq_u16_e32 0, v37
	s_cbranch_execz .LBB75_56
; %bb.53:
	s_mov_b32 s9, 0
.LBB75_54:                              ; =>This Inner Loop Header: Depth=1
	;;#ASMSTART
	global_load_dwordx4 v[34:37], v[39:40] off glc	
s_waitcnt vmcnt(0)
	;;#ASMEND
	v_and_b32_e32 v37, 0xff, v36
	s_delay_alu instid0(VALU_DEP_1) | instskip(SKIP_1) | instid1(SALU_CYCLE_1)
	v_cmp_ne_u16_e32 vcc_lo, 0, v37
	s_or_b32 s9, vcc_lo, s9
	s_and_not1_b32 exec_lo, exec_lo, s9
	s_cbranch_execnz .LBB75_54
; %bb.55:
	s_or_b32 exec_lo, exec_lo, s9
.LBB75_56:
	s_delay_alu instid0(SALU_CYCLE_1)
	s_or_b32 exec_lo, exec_lo, s8
	v_cmp_ne_u32_e32 vcc_lo, 31, v41
	v_dual_mov_b32 v40, v34 :: v_dual_and_b32 v39, 0xff, v36
	v_lshlrev_b32_e64 v45, v41, -1
	v_add_nc_u32_e32 v46, 1, v41
	v_add_co_ci_u32_e32 v37, vcc_lo, 0, v41, vcc_lo
	s_delay_alu instid0(VALU_DEP_4) | instskip(SKIP_1) | instid1(VALU_DEP_2)
	v_cmp_eq_u16_e32 vcc_lo, 2, v39
	s_mov_b32 s8, exec_lo
	v_dual_mov_b32 v39, v35 :: v_dual_lshlrev_b32 v44, 2, v37
	v_and_or_b32 v37, vcc_lo, v45, 0x80000000
	ds_bpermute_b32 v42, v44, v34
	ds_bpermute_b32 v43, v44, v35
	v_ctz_i32_b32_e32 v37, v37
	s_delay_alu instid0(VALU_DEP_1)
	v_cmpx_le_u32_e64 v46, v37
	s_cbranch_execz .LBB75_58
; %bb.57:
	s_waitcnt lgkmcnt(0)
	v_mul_f32_e32 v40, v35, v43
	s_delay_alu instid0(VALU_DEP_1) | instskip(NEXT) | instid1(VALU_DEP_1)
	v_fma_f32 v40, v34, v42, -v40
	v_dual_mul_f32 v39, v34, v43 :: v_dual_mov_b32 v34, v40
	s_delay_alu instid0(VALU_DEP_1) | instskip(NEXT) | instid1(VALU_DEP_1)
	v_fmac_f32_e32 v39, v35, v42
	v_mov_b32_e32 v35, v39
.LBB75_58:
	s_or_b32 exec_lo, exec_lo, s8
	v_cmp_gt_u32_e32 vcc_lo, 30, v41
	v_add_nc_u32_e32 v48, 2, v41
	s_mov_b32 s8, exec_lo
	s_waitcnt lgkmcnt(1)
	v_cndmask_b32_e64 v42, 0, 1, vcc_lo
	s_delay_alu instid0(VALU_DEP_1) | instskip(NEXT) | instid1(VALU_DEP_1)
	v_lshlrev_b32_e32 v42, 1, v42
	v_add_lshl_u32 v47, v42, v41, 2
	ds_bpermute_b32 v42, v47, v34
	s_waitcnt lgkmcnt(1)
	ds_bpermute_b32 v43, v47, v35
	v_cmpx_le_u32_e64 v48, v37
	s_cbranch_execz .LBB75_60
; %bb.59:
	s_waitcnt lgkmcnt(0)
	v_mul_f32_e32 v34, v39, v43
	s_delay_alu instid0(VALU_DEP_1) | instskip(NEXT) | instid1(VALU_DEP_1)
	v_fma_f32 v34, v40, v42, -v34
	v_dual_mul_f32 v35, v40, v43 :: v_dual_mov_b32 v40, v34
	s_delay_alu instid0(VALU_DEP_1) | instskip(NEXT) | instid1(VALU_DEP_1)
	v_fmac_f32_e32 v35, v39, v42
	v_mov_b32_e32 v39, v35
.LBB75_60:
	s_or_b32 exec_lo, exec_lo, s8
	v_cmp_gt_u32_e32 vcc_lo, 28, v41
	v_add_nc_u32_e32 v52, 4, v41
	s_mov_b32 s8, exec_lo
	s_waitcnt lgkmcnt(1)
	v_cndmask_b32_e64 v42, 0, 1, vcc_lo
	s_delay_alu instid0(VALU_DEP_1) | instskip(NEXT) | instid1(VALU_DEP_1)
	v_lshlrev_b32_e32 v42, 2, v42
	v_add_lshl_u32 v51, v42, v41, 2
	ds_bpermute_b32 v42, v51, v34
	s_waitcnt lgkmcnt(1)
	ds_bpermute_b32 v43, v51, v35
	;; [unrolled: 24-line block ×3, first 2 shown]
	v_cmpx_le_u32_e64 v54, v37
	s_cbranch_execz .LBB75_64
; %bb.63:
	s_waitcnt lgkmcnt(0)
	v_mul_f32_e32 v34, v39, v43
	s_delay_alu instid0(VALU_DEP_1) | instskip(NEXT) | instid1(VALU_DEP_1)
	v_fma_f32 v34, v40, v42, -v34
	v_dual_mul_f32 v35, v40, v43 :: v_dual_mov_b32 v40, v34
	s_delay_alu instid0(VALU_DEP_1) | instskip(NEXT) | instid1(VALU_DEP_1)
	v_fmac_f32_e32 v35, v39, v42
	v_mov_b32_e32 v39, v35
.LBB75_64:
	s_or_b32 exec_lo, exec_lo, s8
	v_cmp_gt_u32_e32 vcc_lo, 16, v41
	s_waitcnt lgkmcnt(1)
	v_cndmask_b32_e64 v42, 0, 1, vcc_lo
	s_delay_alu instid0(VALU_DEP_1) | instskip(NEXT) | instid1(VALU_DEP_1)
	v_lshlrev_b32_e32 v42, 4, v42
	v_add_lshl_u32 v55, v42, v41, 2
	ds_bpermute_b32 v35, v55, v35
	ds_bpermute_b32 v34, v55, v34
	v_add_nc_u32_e32 v56, 16, v41
	s_delay_alu instid0(VALU_DEP_1) | instskip(SKIP_4) | instid1(VALU_DEP_2)
	v_cmp_gt_u32_e32 vcc_lo, v56, v37
	s_waitcnt lgkmcnt(1)
	v_mul_f32_e32 v42, v39, v35
	v_mul_f32_e32 v35, v40, v35
	s_waitcnt lgkmcnt(0)
	v_fma_f32 v41, v40, v34, -v42
	s_delay_alu instid0(VALU_DEP_2) | instskip(NEXT) | instid1(VALU_DEP_1)
	v_fmac_f32_e32 v35, v39, v34
	v_dual_cndmask_b32 v34, v35, v39 :: v_dual_mov_b32 v39, 0
	s_delay_alu instid0(VALU_DEP_3)
	v_cndmask_b32_e32 v35, v41, v40, vcc_lo
	s_branch .LBB75_66
.LBB75_65:                              ;   in Loop: Header=BB75_66 Depth=1
	s_or_b32 exec_lo, exec_lo, s8
	ds_bpermute_b32 v35, v55, v35
	ds_bpermute_b32 v34, v55, v34
	v_cmp_gt_u32_e32 vcc_lo, v56, v37
	v_subrev_nc_u32_e32 v38, 32, v38
	s_waitcnt lgkmcnt(1)
	v_mul_f32_e32 v57, v43, v35
	v_mul_f32_e32 v35, v42, v35
	s_waitcnt lgkmcnt(0)
	s_delay_alu instid0(VALU_DEP_2) | instskip(NEXT) | instid1(VALU_DEP_2)
	v_fmac_f32_e32 v57, v42, v34
	v_fma_f32 v34, v43, v34, -v35
	s_delay_alu instid0(VALU_DEP_2) | instskip(NEXT) | instid1(VALU_DEP_2)
	v_cndmask_b32_e32 v35, v57, v42, vcc_lo
	v_cndmask_b32_e32 v37, v34, v43, vcc_lo
	s_delay_alu instid0(VALU_DEP_2) | instskip(SKIP_1) | instid1(VALU_DEP_2)
	v_mul_f32_e32 v42, v41, v35
	v_mul_f32_e32 v34, v40, v35
	v_fma_f32 v35, v40, v37, -v42
	s_delay_alu instid0(VALU_DEP_2)
	v_fmac_f32_e32 v34, v41, v37
.LBB75_66:                              ; =>This Loop Header: Depth=1
                                        ;     Child Loop BB75_69 Depth 2
	s_delay_alu instid0(VALU_DEP_1) | instskip(NEXT) | instid1(VALU_DEP_2)
	v_dual_mov_b32 v41, v34 :: v_dual_and_b32 v36, 0xff, v36
	v_mov_b32_e32 v40, v35
	s_delay_alu instid0(VALU_DEP_2) | instskip(SKIP_2) | instid1(VALU_DEP_1)
	v_cmp_ne_u16_e32 vcc_lo, 2, v36
	v_cndmask_b32_e64 v36, 0, 1, vcc_lo
	;;#ASMSTART
	;;#ASMEND
	v_cmp_ne_u32_e32 vcc_lo, 0, v36
	s_cmp_lg_u32 vcc_lo, exec_lo
	s_cbranch_scc1 .LBB75_79
; %bb.67:                               ;   in Loop: Header=BB75_66 Depth=1
	v_lshlrev_b64 v[34:35], 4, v[38:39]
	s_mov_b32 s8, exec_lo
	s_delay_alu instid0(VALU_DEP_1) | instskip(NEXT) | instid1(VALU_DEP_2)
	v_add_co_u32 v42, vcc_lo, s4, v34
	v_add_co_ci_u32_e32 v43, vcc_lo, s5, v35, vcc_lo
	;;#ASMSTART
	global_load_dwordx4 v[34:37], v[42:43] off glc	
s_waitcnt vmcnt(0)
	;;#ASMEND
	v_and_b32_e32 v37, 0xff, v36
	s_delay_alu instid0(VALU_DEP_1)
	v_cmpx_eq_u16_e32 0, v37
	s_cbranch_execz .LBB75_71
; %bb.68:                               ;   in Loop: Header=BB75_66 Depth=1
	s_mov_b32 s9, 0
.LBB75_69:                              ;   Parent Loop BB75_66 Depth=1
                                        ; =>  This Inner Loop Header: Depth=2
	;;#ASMSTART
	global_load_dwordx4 v[34:37], v[42:43] off glc	
s_waitcnt vmcnt(0)
	;;#ASMEND
	v_and_b32_e32 v37, 0xff, v36
	s_delay_alu instid0(VALU_DEP_1) | instskip(SKIP_1) | instid1(SALU_CYCLE_1)
	v_cmp_ne_u16_e32 vcc_lo, 0, v37
	s_or_b32 s9, vcc_lo, s9
	s_and_not1_b32 exec_lo, exec_lo, s9
	s_cbranch_execnz .LBB75_69
; %bb.70:                               ;   in Loop: Header=BB75_66 Depth=1
	s_or_b32 exec_lo, exec_lo, s9
.LBB75_71:                              ;   in Loop: Header=BB75_66 Depth=1
	s_delay_alu instid0(SALU_CYCLE_1)
	s_or_b32 exec_lo, exec_lo, s8
	v_dual_mov_b32 v42, v35 :: v_dual_and_b32 v37, 0xff, v36
	ds_bpermute_b32 v57, v44, v34
	ds_bpermute_b32 v58, v44, v35
	v_mov_b32_e32 v43, v34
	v_cmp_eq_u16_e32 vcc_lo, 2, v37
	s_mov_b32 s8, exec_lo
	v_and_or_b32 v37, vcc_lo, v45, 0x80000000
	s_delay_alu instid0(VALU_DEP_1) | instskip(NEXT) | instid1(VALU_DEP_1)
	v_ctz_i32_b32_e32 v37, v37
	v_cmpx_le_u32_e64 v46, v37
	s_cbranch_execz .LBB75_73
; %bb.72:                               ;   in Loop: Header=BB75_66 Depth=1
	s_waitcnt lgkmcnt(0)
	v_mul_f32_e32 v42, v34, v58
	v_mul_f32_e32 v43, v35, v58
	s_delay_alu instid0(VALU_DEP_2) | instskip(NEXT) | instid1(VALU_DEP_2)
	v_fmac_f32_e32 v42, v35, v57
	v_fma_f32 v43, v34, v57, -v43
	s_delay_alu instid0(VALU_DEP_1)
	v_dual_mov_b32 v35, v42 :: v_dual_mov_b32 v34, v43
.LBB75_73:                              ;   in Loop: Header=BB75_66 Depth=1
	s_or_b32 exec_lo, exec_lo, s8
	s_waitcnt lgkmcnt(1)
	ds_bpermute_b32 v57, v47, v34
	s_waitcnt lgkmcnt(1)
	ds_bpermute_b32 v58, v47, v35
	s_mov_b32 s8, exec_lo
	v_cmpx_le_u32_e64 v48, v37
	s_cbranch_execz .LBB75_75
; %bb.74:                               ;   in Loop: Header=BB75_66 Depth=1
	s_waitcnt lgkmcnt(0)
	v_mul_f32_e32 v35, v43, v58
	v_mul_f32_e32 v34, v42, v58
	s_delay_alu instid0(VALU_DEP_2) | instskip(NEXT) | instid1(VALU_DEP_2)
	v_fmac_f32_e32 v35, v42, v57
	v_fma_f32 v34, v43, v57, -v34
	s_delay_alu instid0(VALU_DEP_1)
	v_dual_mov_b32 v42, v35 :: v_dual_mov_b32 v43, v34
.LBB75_75:                              ;   in Loop: Header=BB75_66 Depth=1
	s_or_b32 exec_lo, exec_lo, s8
	s_waitcnt lgkmcnt(1)
	ds_bpermute_b32 v57, v51, v34
	s_waitcnt lgkmcnt(1)
	ds_bpermute_b32 v58, v51, v35
	s_mov_b32 s8, exec_lo
	v_cmpx_le_u32_e64 v52, v37
	s_cbranch_execz .LBB75_77
; %bb.76:                               ;   in Loop: Header=BB75_66 Depth=1
	s_waitcnt lgkmcnt(0)
	v_mul_f32_e32 v35, v43, v58
	v_mul_f32_e32 v34, v42, v58
	s_delay_alu instid0(VALU_DEP_2) | instskip(NEXT) | instid1(VALU_DEP_2)
	v_fmac_f32_e32 v35, v42, v57
	v_fma_f32 v34, v43, v57, -v34
	s_delay_alu instid0(VALU_DEP_1)
	v_dual_mov_b32 v42, v35 :: v_dual_mov_b32 v43, v34
.LBB75_77:                              ;   in Loop: Header=BB75_66 Depth=1
	s_or_b32 exec_lo, exec_lo, s8
	s_waitcnt lgkmcnt(1)
	ds_bpermute_b32 v57, v53, v34
	s_waitcnt lgkmcnt(1)
	ds_bpermute_b32 v58, v53, v35
	s_mov_b32 s8, exec_lo
	v_cmpx_le_u32_e64 v54, v37
	s_cbranch_execz .LBB75_65
; %bb.78:                               ;   in Loop: Header=BB75_66 Depth=1
	s_waitcnt lgkmcnt(0)
	v_mul_f32_e32 v35, v43, v58
	v_mul_f32_e32 v34, v42, v58
	s_delay_alu instid0(VALU_DEP_2) | instskip(NEXT) | instid1(VALU_DEP_2)
	v_fmac_f32_e32 v35, v42, v57
	v_fma_f32 v34, v43, v57, -v34
	s_delay_alu instid0(VALU_DEP_1)
	v_dual_mov_b32 v42, v35 :: v_dual_mov_b32 v43, v34
	s_branch .LBB75_65
.LBB75_79:                              ;   in Loop: Header=BB75_66 Depth=1
                                        ; implicit-def: $vgpr36
                                        ; implicit-def: $vgpr35
                                        ; implicit-def: $vgpr34
	s_cbranch_execz .LBB75_66
; %bb.80:
	s_and_saveexec_b32 s8, s3
	s_cbranch_execz .LBB75_82
; %bb.81:
	v_dual_mul_f32 v34, s11, v40 :: v_dual_mul_f32 v37, s11, v41
	s_add_i32 s18, s15, 32
	s_mov_b32 s19, 0
	v_mov_b32_e32 v36, 0
	s_delay_alu instid0(VALU_DEP_2)
	v_fmac_f32_e32 v34, v41, v33
	s_lshl_b64 s[18:19], s[18:19], 4
	v_fma_f32 v33, v40, v33, -v37
	s_add_u32 s18, s4, s18
	s_addc_u32 s19, s5, s19
	v_and_b32_e32 v35, 0xff000000, v34
	v_and_b32_e32 v38, 0xff0000, v34
	s_delay_alu instid0(VALU_DEP_1) | instskip(SKIP_3) | instid1(VALU_DEP_1)
	v_or_b32_e32 v38, v38, v35
	v_mov_b32_e32 v35, 2
	v_and_b32_e32 v39, 0xff00, v34
	v_and_b32_e32 v34, 0xff, v34
	v_or3_b32 v34, v38, v39, v34
	v_dual_mov_b32 v38, s19 :: v_dual_mov_b32 v37, s18
	;;#ASMSTART
	global_store_dwordx4 v[37:38], v[33:36] off	
s_waitcnt vmcnt(0)
	;;#ASMEND
.LBB75_82:
	s_or_b32 exec_lo, exec_lo, s8
	s_delay_alu instid0(SALU_CYCLE_1)
	s_and_b32 exec_lo, exec_lo, s2
	s_cbranch_execz .LBB75_84
; %bb.83:
	v_mov_b32_e32 v33, 0
	ds_store_b64 v33, v[40:41]
.LBB75_84:
	s_or_b32 exec_lo, exec_lo, s10
	s_waitcnt lgkmcnt(0)
	v_dual_mov_b32 v33, 0 :: v_dual_mul_f32 v36, v1, v50
	s_barrier
	buffer_gl0_inv
	ds_load_b64 v[33:34], v33
	v_fmac_f32_e32 v36, v2, v49
	s_delay_alu instid0(VALU_DEP_1) | instskip(SKIP_1) | instid1(VALU_DEP_1)
	v_cndmask_b32_e64 v36, v36, v2, s2
	v_mul_f32_e32 v35, v2, v50
	v_fma_f32 v35, v1, v49, -v35
	s_delay_alu instid0(VALU_DEP_1) | instskip(SKIP_1) | instid1(VALU_DEP_1)
	v_cndmask_b32_e64 v35, v35, v1, s2
	s_waitcnt lgkmcnt(0)
	v_mul_f32_e32 v60, v35, v34
	v_mul_f32_e32 v34, v36, v34
	s_delay_alu instid0(VALU_DEP_2) | instskip(NEXT) | instid1(VALU_DEP_2)
	v_fmac_f32_e32 v60, v36, v33
	v_fma_f32 v59, v35, v33, -v34
	s_delay_alu instid0(VALU_DEP_2) | instskip(SKIP_1) | instid1(VALU_DEP_2)
	v_mul_f32_e32 v76, v60, v3
	v_mul_f32_e32 v33, v60, v4
	v_fmac_f32_e32 v76, v59, v4
	s_delay_alu instid0(VALU_DEP_2) | instskip(NEXT) | instid1(VALU_DEP_2)
	v_fma_f32 v75, v59, v3, -v33
	v_mul_f32_e32 v34, v76, v29
	s_delay_alu instid0(VALU_DEP_1) | instskip(NEXT) | instid1(VALU_DEP_1)
	v_fmac_f32_e32 v34, v75, v30
	v_dual_mul_f32 v33, v76, v30 :: v_dual_mul_f32 v78, v34, v31
	s_delay_alu instid0(VALU_DEP_1) | instskip(SKIP_1) | instid1(VALU_DEP_2)
	v_fma_f32 v33, v75, v29, -v33
	v_mul_f32_e32 v35, v34, v32
	v_fmac_f32_e32 v78, v33, v32
	s_delay_alu instid0(VALU_DEP_2) | instskip(NEXT) | instid1(VALU_DEP_2)
	v_fma_f32 v77, v33, v31, -v35
	v_mul_f32_e32 v38, v78, v25
	v_mul_f32_e32 v35, v78, v26
	s_delay_alu instid0(VALU_DEP_2) | instskip(NEXT) | instid1(VALU_DEP_2)
	v_fmac_f32_e32 v38, v77, v26
	v_fma_f32 v37, v77, v25, -v35
	s_delay_alu instid0(VALU_DEP_2) | instskip(SKIP_1) | instid1(VALU_DEP_2)
	v_mul_f32_e32 v80, v38, v27
	v_mul_f32_e32 v35, v38, v28
	v_fmac_f32_e32 v80, v37, v28
	s_delay_alu instid0(VALU_DEP_2) | instskip(NEXT) | instid1(VALU_DEP_2)
	v_fma_f32 v79, v37, v27, -v35
	v_mul_f32_e32 v42, v80, v21
	v_mul_f32_e32 v35, v80, v22
	s_delay_alu instid0(VALU_DEP_2) | instskip(NEXT) | instid1(VALU_DEP_2)
	v_fmac_f32_e32 v42, v79, v22
	v_fma_f32 v41, v79, v21, -v35
	s_delay_alu instid0(VALU_DEP_2) | instskip(SKIP_1) | instid1(VALU_DEP_2)
	v_mul_f32_e32 v82, v42, v23
	;; [unrolled: 11-line block ×6, first 2 shown]
	v_mul_f32_e32 v90, v7, v58
	v_fma_f32 v89, v7, v57, -v35
	s_delay_alu instid0(VALU_DEP_2)
	v_fmac_f32_e32 v90, v8, v57
	s_load_b128 s[8:11], s[0:1], 0x38
	s_branch .LBB75_103
.LBB75_85:
                                        ; implicit-def: $vgpr57_vgpr58_vgpr59_vgpr60
                                        ; implicit-def: $vgpr89
                                        ; implicit-def: $vgpr87
                                        ; implicit-def: $vgpr85
                                        ; implicit-def: $vgpr83
                                        ; implicit-def: $vgpr81
                                        ; implicit-def: $vgpr79
                                        ; implicit-def: $vgpr77
                                        ; implicit-def: $vgpr75
                                        ; implicit-def: $vgpr53_vgpr54_vgpr55_vgpr56
                                        ; implicit-def: $vgpr49_vgpr50_vgpr51_vgpr52
                                        ; implicit-def: $vgpr45_vgpr46_vgpr47_vgpr48
                                        ; implicit-def: $vgpr41_vgpr42_vgpr43_vgpr44
                                        ; implicit-def: $vgpr37_vgpr38_vgpr39_vgpr40
                                        ; implicit-def: $vgpr33_vgpr34_vgpr35_vgpr36
                                        ; implicit-def: $vgpr59_vgpr60_vgpr61_vgpr62
	s_load_b128 s[8:11], s[0:1], 0x38
	s_cbranch_execz .LBB75_103
; %bb.86:
	s_load_b32 s2, s[0:1], 0x48
	v_cmp_eq_u32_e32 vcc_lo, 0, v0
	s_waitcnt lgkmcnt(0)
	s_bitcmp1_b32 s2, 0
	v_cmp_ne_u32_e64 s2, 0, v0
	s_cselect_b32 s3, -1, 0
	s_delay_alu instid0(SALU_CYCLE_1) | instskip(NEXT) | instid1(SALU_CYCLE_1)
	s_and_b32 s15, vcc_lo, s3
	s_and_saveexec_b32 s3, s15
	s_cbranch_execz .LBB75_88
; %bb.87:
	s_load_b64 s[8:9], s[8:9], 0x0
	s_waitcnt lgkmcnt(0)
	v_dual_mul_f32 v33, s9, v1 :: v_dual_mul_f32 v34, s9, v2
	s_delay_alu instid0(VALU_DEP_1) | instskip(NEXT) | instid1(VALU_DEP_2)
	v_fmac_f32_e32 v33, s8, v2
	v_fma_f32 v1, v1, s8, -v34
	s_delay_alu instid0(VALU_DEP_2)
	v_mov_b32_e32 v2, v33
.LBB75_88:
	s_or_b32 exec_lo, exec_lo, s3
	s_delay_alu instid0(VALU_DEP_1) | instskip(NEXT) | instid1(VALU_DEP_3)
	v_mul_f32_e32 v33, v4, v2
	v_mul_f32_e32 v76, v4, v1
	v_add_lshl_u32 v36, v107, v0, 3
	s_mov_b32 s8, exec_lo
	s_delay_alu instid0(VALU_DEP_3) | instskip(NEXT) | instid1(VALU_DEP_3)
	v_fma_f32 v75, v3, v1, -v33
	v_fmac_f32_e32 v76, v3, v2
	s_delay_alu instid0(VALU_DEP_2) | instskip(NEXT) | instid1(VALU_DEP_2)
	v_mul_f32_e32 v34, v75, v30
	v_mul_f32_e32 v33, v76, v30
	s_delay_alu instid0(VALU_DEP_2) | instskip(NEXT) | instid1(VALU_DEP_2)
	v_fmac_f32_e32 v34, v76, v29
	v_fma_f32 v33, v75, v29, -v33
	s_delay_alu instid0(VALU_DEP_2) | instskip(NEXT) | instid1(VALU_DEP_2)
	v_mul_f32_e32 v35, v34, v32
	v_mul_f32_e32 v78, v33, v32
	s_delay_alu instid0(VALU_DEP_2) | instskip(NEXT) | instid1(VALU_DEP_2)
	v_fma_f32 v77, v33, v31, -v35
	v_fmac_f32_e32 v78, v34, v31
	s_delay_alu instid0(VALU_DEP_2) | instskip(NEXT) | instid1(VALU_DEP_2)
	v_mul_f32_e32 v38, v77, v26
	v_mul_f32_e32 v35, v78, v26
	s_delay_alu instid0(VALU_DEP_2) | instskip(NEXT) | instid1(VALU_DEP_2)
	v_fmac_f32_e32 v38, v78, v25
	v_fma_f32 v37, v77, v25, -v35
	s_delay_alu instid0(VALU_DEP_2) | instskip(NEXT) | instid1(VALU_DEP_2)
	v_mul_f32_e32 v35, v38, v28
	v_mul_f32_e32 v80, v37, v28
	s_delay_alu instid0(VALU_DEP_2) | instskip(NEXT) | instid1(VALU_DEP_2)
	v_fma_f32 v79, v37, v27, -v35
	v_fmac_f32_e32 v80, v38, v27
	s_delay_alu instid0(VALU_DEP_2) | instskip(NEXT) | instid1(VALU_DEP_2)
	v_mul_f32_e32 v42, v79, v22
	v_mul_f32_e32 v35, v80, v22
	s_delay_alu instid0(VALU_DEP_2) | instskip(NEXT) | instid1(VALU_DEP_2)
	v_fmac_f32_e32 v42, v80, v21
	v_fma_f32 v41, v79, v21, -v35
	s_delay_alu instid0(VALU_DEP_2) | instskip(NEXT) | instid1(VALU_DEP_2)
	v_mul_f32_e32 v35, v42, v24
	v_mul_f32_e32 v82, v41, v24
	s_delay_alu instid0(VALU_DEP_2) | instskip(NEXT) | instid1(VALU_DEP_2)
	v_fma_f32 v81, v41, v23, -v35
	v_fmac_f32_e32 v82, v42, v23
	s_delay_alu instid0(VALU_DEP_2) | instskip(NEXT) | instid1(VALU_DEP_2)
	v_mul_f32_e32 v46, v81, v18
	v_mul_f32_e32 v35, v82, v18
	s_delay_alu instid0(VALU_DEP_2) | instskip(NEXT) | instid1(VALU_DEP_2)
	v_fmac_f32_e32 v46, v82, v17
	v_fma_f32 v45, v81, v17, -v35
	s_delay_alu instid0(VALU_DEP_2) | instskip(NEXT) | instid1(VALU_DEP_2)
	v_mul_f32_e32 v35, v46, v20
	v_mul_f32_e32 v84, v45, v20
	s_delay_alu instid0(VALU_DEP_2) | instskip(NEXT) | instid1(VALU_DEP_2)
	v_fma_f32 v83, v45, v19, -v35
	v_fmac_f32_e32 v84, v46, v19
	s_delay_alu instid0(VALU_DEP_2) | instskip(NEXT) | instid1(VALU_DEP_2)
	v_mul_f32_e32 v50, v83, v14
	v_mul_f32_e32 v35, v84, v14
	s_delay_alu instid0(VALU_DEP_2) | instskip(NEXT) | instid1(VALU_DEP_2)
	v_fmac_f32_e32 v50, v84, v13
	v_fma_f32 v49, v83, v13, -v35
	s_delay_alu instid0(VALU_DEP_2) | instskip(NEXT) | instid1(VALU_DEP_2)
	v_mul_f32_e32 v35, v50, v16
	v_mul_f32_e32 v86, v49, v16
	s_delay_alu instid0(VALU_DEP_2) | instskip(NEXT) | instid1(VALU_DEP_2)
	v_fma_f32 v85, v49, v15, -v35
	v_fmac_f32_e32 v86, v50, v15
	s_delay_alu instid0(VALU_DEP_2) | instskip(NEXT) | instid1(VALU_DEP_2)
	v_mul_f32_e32 v54, v85, v10
	v_mul_f32_e32 v35, v86, v10
	s_delay_alu instid0(VALU_DEP_2) | instskip(NEXT) | instid1(VALU_DEP_2)
	v_fmac_f32_e32 v54, v86, v9
	v_fma_f32 v53, v85, v9, -v35
	s_delay_alu instid0(VALU_DEP_2) | instskip(NEXT) | instid1(VALU_DEP_2)
	v_mul_f32_e32 v35, v54, v12
	v_mul_f32_e32 v88, v53, v12
	s_delay_alu instid0(VALU_DEP_2) | instskip(NEXT) | instid1(VALU_DEP_2)
	v_fma_f32 v87, v53, v11, -v35
	v_fmac_f32_e32 v88, v54, v11
	s_delay_alu instid0(VALU_DEP_2) | instskip(NEXT) | instid1(VALU_DEP_2)
	v_mul_f32_e32 v58, v87, v6
	v_mul_f32_e32 v35, v88, v6
	s_delay_alu instid0(VALU_DEP_2) | instskip(NEXT) | instid1(VALU_DEP_2)
	v_fmac_f32_e32 v58, v88, v5
	v_fma_f32 v57, v87, v5, -v35
	s_delay_alu instid0(VALU_DEP_2) | instskip(NEXT) | instid1(VALU_DEP_2)
	v_mul_f32_e32 v35, v8, v58
	v_mul_f32_e32 v90, v8, v57
	s_delay_alu instid0(VALU_DEP_2) | instskip(NEXT) | instid1(VALU_DEP_2)
	v_fma_f32 v89, v7, v57, -v35
	v_fmac_f32_e32 v90, v7, v58
	ds_store_b64 v36, v[89:90]
	s_waitcnt lgkmcnt(0)
	s_barrier
	buffer_gl0_inv
	v_cmpx_gt_u32_e32 32, v0
	s_cbranch_execz .LBB75_98
; %bb.89:
	v_lshlrev_b32_e32 v35, 1, v0
	s_mov_b32 s9, exec_lo
	s_delay_alu instid0(VALU_DEP_1) | instskip(NEXT) | instid1(VALU_DEP_1)
	v_and_b32_e32 v35, 0x1f8, v35
	v_lshl_or_b32 v35, v0, 6, v35
	ds_load_2addr_b64 v[71:74], v35 offset1:1
	ds_load_2addr_b64 v[67:70], v35 offset0:2 offset1:3
	ds_load_2addr_b64 v[59:62], v35 offset0:4 offset1:5
	;; [unrolled: 1-line block ×3, first 2 shown]
	s_waitcnt lgkmcnt(3)
	v_mul_f32_e32 v39, v71, v74
	v_mul_f32_e32 v36, v72, v74
	s_delay_alu instid0(VALU_DEP_2) | instskip(NEXT) | instid1(VALU_DEP_2)
	v_fmac_f32_e32 v39, v72, v73
	v_fma_f32 v36, v71, v73, -v36
	s_waitcnt lgkmcnt(2)
	s_delay_alu instid0(VALU_DEP_2) | instskip(NEXT) | instid1(VALU_DEP_2)
	v_mul_f32_e32 v43, v39, v68
	v_mul_f32_e32 v40, v36, v68
	s_delay_alu instid0(VALU_DEP_2) | instskip(NEXT) | instid1(VALU_DEP_1)
	v_fma_f32 v36, v67, v36, -v43
	v_dual_fmac_f32 v40, v67, v39 :: v_dual_mul_f32 v43, v36, v70
	s_delay_alu instid0(VALU_DEP_1) | instskip(NEXT) | instid1(VALU_DEP_2)
	v_mul_f32_e32 v39, v40, v70
	v_fmac_f32_e32 v43, v69, v40
	s_delay_alu instid0(VALU_DEP_2) | instskip(SKIP_1) | instid1(VALU_DEP_2)
	v_fma_f32 v36, v69, v36, -v39
	s_waitcnt lgkmcnt(1)
	v_mul_f32_e32 v40, v43, v60
	s_delay_alu instid0(VALU_DEP_2) | instskip(NEXT) | instid1(VALU_DEP_2)
	v_mul_f32_e32 v39, v36, v60
	v_fma_f32 v36, v59, v36, -v40
	s_delay_alu instid0(VALU_DEP_2) | instskip(NEXT) | instid1(VALU_DEP_2)
	v_fmac_f32_e32 v39, v59, v43
	v_mul_f32_e32 v43, v36, v62
	s_delay_alu instid0(VALU_DEP_1) | instskip(NEXT) | instid1(VALU_DEP_1)
	v_dual_mul_f32 v40, v39, v62 :: v_dual_fmac_f32 v43, v61, v39
	v_fma_f32 v36, v61, v36, -v40
	s_waitcnt lgkmcnt(0)
	s_delay_alu instid0(VALU_DEP_2) | instskip(NEXT) | instid1(VALU_DEP_2)
	v_mul_f32_e32 v39, v43, v64
	v_mul_f32_e32 v44, v36, v64
	s_delay_alu instid0(VALU_DEP_2) | instskip(SKIP_1) | instid1(VALU_DEP_2)
	v_fma_f32 v39, v63, v36, -v39
	v_mbcnt_lo_u32_b32 v36, -1, 0
	v_mul_f32_e32 v40, v39, v66
	s_delay_alu instid0(VALU_DEP_4) | instskip(NEXT) | instid1(VALU_DEP_1)
	v_fmac_f32_e32 v44, v63, v43
	v_dual_mul_f32 v43, v44, v66 :: v_dual_fmac_f32 v40, v65, v44
	s_delay_alu instid0(VALU_DEP_1) | instskip(SKIP_1) | instid1(VALU_DEP_3)
	v_fma_f32 v39, v65, v39, -v43
	v_and_b32_e32 v43, 15, v36
	v_mov_b32_dpp v47, v40 row_shr:1 row_mask:0xf bank_mask:0xf
	s_delay_alu instid0(VALU_DEP_3) | instskip(NEXT) | instid1(VALU_DEP_3)
	v_mov_b32_dpp v44, v39 row_shr:1 row_mask:0xf bank_mask:0xf
	v_cmpx_ne_u32_e32 0, v43
; %bb.90:
	s_delay_alu instid0(VALU_DEP_3) | instskip(SKIP_1) | instid1(VALU_DEP_2)
	v_mul_f32_e32 v48, v40, v47
	v_mul_f32_e32 v47, v39, v47
	v_fma_f32 v39, v39, v44, -v48
	s_delay_alu instid0(VALU_DEP_2) | instskip(NEXT) | instid1(VALU_DEP_1)
	v_fmac_f32_e32 v47, v40, v44
	v_mov_b32_e32 v40, v47
; %bb.91:
	s_or_b32 exec_lo, exec_lo, s9
	s_delay_alu instid0(VALU_DEP_3) | instskip(NEXT) | instid1(VALU_DEP_2)
	v_mov_b32_dpp v44, v39 row_shr:2 row_mask:0xf bank_mask:0xf
	v_mov_b32_dpp v47, v40 row_shr:2 row_mask:0xf bank_mask:0xf
	s_mov_b32 s9, exec_lo
	v_cmpx_lt_u32_e32 1, v43
; %bb.92:
	s_delay_alu instid0(VALU_DEP_2) | instskip(SKIP_1) | instid1(VALU_DEP_2)
	v_mul_f32_e32 v48, v39, v47
	v_mul_f32_e32 v47, v40, v47
	v_fmac_f32_e32 v48, v40, v44
	s_delay_alu instid0(VALU_DEP_2) | instskip(NEXT) | instid1(VALU_DEP_2)
	v_fma_f32 v39, v39, v44, -v47
	v_mov_b32_e32 v40, v48
; %bb.93:
	s_or_b32 exec_lo, exec_lo, s9
	s_delay_alu instid0(VALU_DEP_2) | instskip(NEXT) | instid1(VALU_DEP_2)
	v_mov_b32_dpp v44, v39 row_shr:4 row_mask:0xf bank_mask:0xf
	v_mov_b32_dpp v47, v40 row_shr:4 row_mask:0xf bank_mask:0xf
	s_mov_b32 s9, exec_lo
	v_cmpx_lt_u32_e32 3, v43
; %bb.94:
	s_delay_alu instid0(VALU_DEP_2) | instskip(SKIP_1) | instid1(VALU_DEP_2)
	v_mul_f32_e32 v48, v39, v47
	v_mul_f32_e32 v47, v40, v47
	v_fmac_f32_e32 v48, v40, v44
	s_delay_alu instid0(VALU_DEP_2) | instskip(NEXT) | instid1(VALU_DEP_2)
	v_fma_f32 v39, v39, v44, -v47
	v_mov_b32_e32 v40, v48
; %bb.95:
	s_or_b32 exec_lo, exec_lo, s9
	s_delay_alu instid0(VALU_DEP_2) | instskip(NEXT) | instid1(VALU_DEP_2)
	v_mov_b32_dpp v44, v39 row_shr:8 row_mask:0xf bank_mask:0xf
	v_mov_b32_dpp v47, v40 row_shr:8 row_mask:0xf bank_mask:0xf
	s_mov_b32 s9, exec_lo
	v_cmpx_lt_u32_e32 7, v43
; %bb.96:
	s_delay_alu instid0(VALU_DEP_2) | instskip(NEXT) | instid1(VALU_DEP_1)
	v_mul_f32_e32 v43, v39, v47
	v_fmac_f32_e32 v43, v40, v44
	s_delay_alu instid0(VALU_DEP_1) | instskip(NEXT) | instid1(VALU_DEP_1)
	v_dual_mul_f32 v47, v40, v47 :: v_dual_mov_b32 v40, v43
	v_fma_f32 v39, v39, v44, -v47
; %bb.97:
	s_or_b32 exec_lo, exec_lo, s9
	ds_swizzle_b32 v43, v40 offset:swizzle(BROADCAST,32,15)
	ds_swizzle_b32 v44, v39 offset:swizzle(BROADCAST,32,15)
	v_add_nc_u32_e32 v47, -1, v36
	s_waitcnt lgkmcnt(1)
	v_dual_mul_f32 v48, v39, v43 :: v_dual_and_b32 v51, 16, v36
	s_delay_alu instid0(VALU_DEP_2) | instskip(SKIP_1) | instid1(VALU_DEP_2)
	v_cmp_gt_i32_e64 s3, 0, v47
	s_waitcnt lgkmcnt(0)
	v_fmac_f32_e32 v48, v40, v44
	s_delay_alu instid0(VALU_DEP_2) | instskip(SKIP_2) | instid1(VALU_DEP_3)
	v_cndmask_b32_e64 v36, v47, v36, s3
	v_mul_f32_e32 v43, v40, v43
	v_cmp_eq_u32_e64 s3, 0, v51
	v_lshlrev_b32_e32 v36, 2, v36
	s_delay_alu instid0(VALU_DEP_3) | instskip(NEXT) | instid1(VALU_DEP_3)
	v_fma_f32 v43, v39, v44, -v43
	v_cndmask_b32_e64 v40, v48, v40, s3
	s_delay_alu instid0(VALU_DEP_2)
	v_cndmask_b32_e64 v39, v43, v39, s3
	ds_bpermute_b32 v40, v36, v40
	ds_bpermute_b32 v36, v36, v39
	s_waitcnt lgkmcnt(1)
	v_mul_f32_e32 v39, v71, v40
	v_mul_f32_e32 v40, v72, v40
	s_waitcnt lgkmcnt(0)
	s_delay_alu instid0(VALU_DEP_2) | instskip(NEXT) | instid1(VALU_DEP_2)
	v_fmac_f32_e32 v39, v72, v36
	v_fma_f32 v36, v71, v36, -v40
	s_delay_alu instid0(VALU_DEP_1) | instskip(NEXT) | instid1(VALU_DEP_1)
	v_dual_cndmask_b32 v40, v39, v90 :: v_dual_cndmask_b32 v39, v36, v89
	v_mul_f32_e32 v36, v74, v40
	s_delay_alu instid0(VALU_DEP_2) | instskip(NEXT) | instid1(VALU_DEP_2)
	v_mul_f32_e32 v44, v74, v39
	v_fma_f32 v43, v73, v39, -v36
	s_delay_alu instid0(VALU_DEP_2) | instskip(NEXT) | instid1(VALU_DEP_2)
	v_fmac_f32_e32 v44, v73, v40
	v_mul_f32_e32 v48, v68, v43
	s_delay_alu instid0(VALU_DEP_2) | instskip(NEXT) | instid1(VALU_DEP_2)
	v_mul_f32_e32 v36, v68, v44
	v_fmac_f32_e32 v48, v67, v44
	s_delay_alu instid0(VALU_DEP_2) | instskip(NEXT) | instid1(VALU_DEP_2)
	v_fma_f32 v47, v67, v43, -v36
	v_mul_f32_e32 v36, v70, v48
	s_delay_alu instid0(VALU_DEP_2) | instskip(NEXT) | instid1(VALU_DEP_2)
	v_mul_f32_e32 v52, v70, v47
	v_fma_f32 v51, v69, v47, -v36
	s_delay_alu instid0(VALU_DEP_2) | instskip(NEXT) | instid1(VALU_DEP_2)
	v_fmac_f32_e32 v52, v69, v48
	v_mul_f32_e32 v56, v60, v51
	s_delay_alu instid0(VALU_DEP_2) | instskip(NEXT) | instid1(VALU_DEP_2)
	v_mul_f32_e32 v36, v60, v52
	v_fmac_f32_e32 v56, v59, v52
	s_delay_alu instid0(VALU_DEP_2) | instskip(NEXT) | instid1(VALU_DEP_2)
	v_fma_f32 v55, v59, v51, -v36
	;; [unrolled: 12-line block ×3, first 2 shown]
	v_mul_f32_e32 v36, v66, v62
	s_delay_alu instid0(VALU_DEP_2) | instskip(NEXT) | instid1(VALU_DEP_2)
	v_mul_f32_e32 v64, v66, v61
	v_fma_f32 v63, v65, v61, -v36
	s_delay_alu instid0(VALU_DEP_2)
	v_fmac_f32_e32 v64, v65, v62
	ds_store_2addr_b64 v35, v[39:40], v[43:44] offset1:1
	ds_store_2addr_b64 v35, v[47:48], v[51:52] offset0:2 offset1:3
	ds_store_2addr_b64 v35, v[55:56], v[59:60] offset0:4 offset1:5
	;; [unrolled: 1-line block ×3, first 2 shown]
.LBB75_98:
	s_or_b32 exec_lo, exec_lo, s8
	v_dual_mov_b32 v36, v90 :: v_dual_mov_b32 v35, v89
	s_waitcnt lgkmcnt(0)
	s_barrier
	buffer_gl0_inv
	s_and_saveexec_b32 s3, s2
	s_cbranch_execnz .LBB75_179
; %bb.99:
	s_or_b32 exec_lo, exec_lo, s3
	s_and_saveexec_b32 s3, s2
	s_cbranch_execnz .LBB75_180
.LBB75_100:
	s_or_b32 exec_lo, exec_lo, s3
	s_and_saveexec_b32 s2, vcc_lo
	s_cbranch_execz .LBB75_102
.LBB75_101:
	v_dual_mov_b32 v6, 0 :: v_dual_mov_b32 v5, 2
	s_mov_b32 s8, 0
	s_add_u32 s4, s4, 0x200
	s_addc_u32 s5, s5, 0
	ds_load_b64 v[3:4], v6 offset:2096
	s_mov_b32 s18, s8
	v_dual_mov_b32 v8, s5 :: v_dual_mov_b32 v7, s4
	s_waitcnt lgkmcnt(0)
	v_readfirstlane_b32 s3, v4
	s_delay_alu instid0(VALU_DEP_1) | instskip(SKIP_1) | instid1(SALU_CYCLE_1)
	s_and_b32 s9, s3, 0xff000000
	s_and_b32 s19, s3, 0xff0000
	s_or_b64 s[18:19], s[18:19], s[8:9]
	s_and_b32 s9, s3, 0xff00
	s_delay_alu instid0(SALU_CYCLE_1) | instskip(SKIP_1) | instid1(SALU_CYCLE_1)
	s_or_b64 s[18:19], s[18:19], s[8:9]
	s_and_b32 s9, s3, 0xff
	s_or_b64 s[8:9], s[18:19], s[8:9]
	s_delay_alu instid0(SALU_CYCLE_1)
	v_mov_b32_e32 v4, s9
	;;#ASMSTART
	global_store_dwordx4 v[7:8], v[3:6] off	
s_waitcnt vmcnt(0)
	;;#ASMEND
.LBB75_102:
	s_or_b32 exec_lo, exec_lo, s2
	v_dual_mov_b32 v59, v1 :: v_dual_mov_b32 v60, v2
.LBB75_103:
	v_lshlrev_b32_e32 v1, 7, v0
	s_add_u32 s2, s6, s12
	s_addc_u32 s3, s7, s13
	s_and_b32 vcc_lo, exec_lo, s17
	s_mov_b32 s4, -1
	s_waitcnt lgkmcnt(0)
	s_barrier
	buffer_gl0_inv
	s_cbranch_vccz .LBB75_105
; %bb.104:
	v_lshl_add_u32 v2, v108, 3, v1
	v_lshrrev_b32_e32 v3, 5, v104
	v_lshrrev_b32_e32 v4, 5, v103
	v_add_lshl_u32 v5, v107, v0, 3
	v_lshrrev_b32_e32 v19, 5, v97
	ds_store_2addr_b64 v2, v[59:60], v[75:76] offset1:1
	ds_store_2addr_b64 v2, v[33:34], v[77:78] offset0:2 offset1:3
	ds_store_2addr_b64 v2, v[37:38], v[79:80] offset0:4 offset1:5
	;; [unrolled: 1-line block ×7, first 2 shown]
	v_lshrrev_b32_e32 v2, 5, v105
	v_add_lshl_u32 v7, v3, v0, 3
	v_add_lshl_u32 v8, v4, v0, 3
	s_waitcnt lgkmcnt(0)
	s_barrier
	v_add_lshl_u32 v6, v2, v0, 3
	buffer_gl0_inv
	v_lshrrev_b32_e32 v20, 5, v96
	ds_load_b64 v[2:3], v5
	ds_load_b64 v[4:5], v6 offset:2048
	ds_load_b64 v[6:7], v7 offset:4096
	;; [unrolled: 1-line block ×3, first 2 shown]
	v_lshrrev_b32_e32 v10, 5, v102
	v_lshrrev_b32_e32 v18, 5, v98
	;; [unrolled: 1-line block ×5, first 2 shown]
	v_add_lshl_u32 v21, v19, v0, 3
	v_lshrrev_b32_e32 v19, 5, v95
	v_add_lshl_u32 v22, v20, v0, 3
	v_lshrrev_b32_e32 v20, 5, v94
	v_lshrrev_b32_e32 v23, 5, v93
	v_lshrrev_b32_e32 v24, 5, v92
	v_lshrrev_b32_e32 v25, 5, v91
	v_add_lshl_u32 v10, v10, v0, 3
	v_add_lshl_u32 v18, v18, v0, 3
	;; [unrolled: 1-line block ×10, first 2 shown]
	ds_load_b64 v[10:11], v10 offset:8192
	ds_load_b64 v[12:13], v14 offset:10240
	;; [unrolled: 1-line block ×12, first 2 shown]
	v_add_co_u32 v32, s5, s2, v106
	s_delay_alu instid0(VALU_DEP_1)
	v_add_co_ci_u32_e64 v61, null, s3, 0, s5
	s_waitcnt lgkmcnt(14)
	global_store_b64 v106, v[4:5], s[2:3] offset:2048
	v_add_co_u32 v4, vcc_lo, 0x1000, v32
	v_add_co_ci_u32_e32 v5, vcc_lo, 0, v61, vcc_lo
	v_add_co_u32 v39, vcc_lo, v32, 0x2000
	v_add_co_ci_u32_e32 v40, vcc_lo, 0, v61, vcc_lo
	;; [unrolled: 2-line block ×6, first 2 shown]
	s_waitcnt lgkmcnt(13)
	global_store_b64 v[39:40], v[6:7], off offset:-4096
	s_waitcnt lgkmcnt(11)
	global_store_b64 v[39:40], v[10:11], off
	s_waitcnt lgkmcnt(9)
	global_store_b64 v[51:52], v[14:15], off offset:-4096
	s_waitcnt lgkmcnt(7)
	s_clause 0x3
	global_store_b64 v[51:52], v[18:19], off
	global_store_b64 v[4:5], v[8:9], off offset:2048
	global_store_b64 v[43:44], v[12:13], off offset:2048
	;; [unrolled: 1-line block ×3, first 2 shown]
	s_waitcnt lgkmcnt(6)
	global_store_b64 v[55:56], v[20:21], off offset:2048
	v_add_co_u32 v4, vcc_lo, v32, 0x6000
	v_add_co_ci_u32_e32 v5, vcc_lo, 0, v61, vcc_lo
	v_add_co_u32 v6, vcc_lo, 0x5000, v32
	v_add_co_ci_u32_e32 v7, vcc_lo, 0, v61, vcc_lo
	;; [unrolled: 2-line block ×4, first 2 shown]
	s_mov_b32 s4, 0
	s_waitcnt lgkmcnt(5)
	s_clause 0x1
	global_store_b64 v[4:5], v[22:23], off offset:-4096
	global_store_b64 v106, v[2:3], s[2:3]
	s_waitcnt lgkmcnt(3)
	s_clause 0x1
	global_store_b64 v[4:5], v[26:27], off
	global_store_b64 v[6:7], v[24:25], off offset:2048
	s_waitcnt lgkmcnt(2)
	global_store_b64 v[8:9], v[28:29], off offset:2048
	s_waitcnt lgkmcnt(1)
	global_store_b64 v[10:11], v[30:31], off
	s_waitcnt lgkmcnt(0)
	global_store_b64 v[10:11], v[35:36], off offset:2048
.LBB75_105:
	s_and_not1_b32 vcc_lo, exec_lo, s4
	s_cbranch_vccnz .LBB75_178
; %bb.106:
	v_lshl_add_u32 v1, v108, 3, v1
	v_lshrrev_b32_e32 v2, 5, v104
	v_lshrrev_b32_e32 v3, 5, v103
	v_add_lshl_u32 v36, v107, v0, 3
	v_lshrrev_b32_e32 v10, 5, v102
	ds_store_2addr_b64 v1, v[59:60], v[75:76] offset1:1
	ds_store_2addr_b64 v1, v[33:34], v[77:78] offset0:2 offset1:3
	ds_store_2addr_b64 v1, v[37:38], v[79:80] offset0:4 offset1:5
	;; [unrolled: 1-line block ×7, first 2 shown]
	v_lshrrev_b32_e32 v1, 5, v105
	v_lshrrev_b32_e32 v11, 5, v101
	v_add_lshl_u32 v6, v2, v0, 3
	v_lshrrev_b32_e32 v12, 5, v100
	v_add_lshl_u32 v8, v3, v0, 3
	v_add_lshl_u32 v1, v1, v0, 3
	v_lshrrev_b32_e32 v13, 5, v99
	s_waitcnt lgkmcnt(0)
	s_waitcnt_vscnt null, 0x0
	s_barrier
	buffer_gl0_inv
	ds_load_b64 v[4:5], v36
	ds_load_b64 v[2:3], v1 offset:2048
	ds_load_b64 v[6:7], v6 offset:4096
	;; [unrolled: 1-line block ×3, first 2 shown]
	v_add_lshl_u32 v1, v10, v0, 3
	v_lshrrev_b32_e32 v18, 5, v98
	v_add_lshl_u32 v14, v11, v0, 3
	v_lshrrev_b32_e32 v19, 5, v97
	v_lshrrev_b32_e32 v20, 5, v96
	v_add_lshl_u32 v15, v12, v0, 3
	v_add_lshl_u32 v16, v13, v0, 3
	ds_load_b64 v[10:11], v1 offset:8192
	ds_load_b64 v[12:13], v14 offset:10240
	ds_load_b64 v[14:15], v15 offset:12288
	ds_load_b64 v[16:17], v16 offset:14336
	v_add_lshl_u32 v1, v18, v0, 3
	v_lshrrev_b32_e32 v18, 5, v95
	v_add_lshl_u32 v21, v19, v0, 3
	v_add_lshl_u32 v22, v20, v0, 3
	v_lshrrev_b32_e32 v19, 5, v94
	v_lshrrev_b32_e32 v20, 5, v93
	;; [unrolled: 1-line block ×4, first 2 shown]
	v_add_lshl_u32 v25, v18, v0, 3
	v_add_lshl_u32 v26, v19, v0, 3
	;; [unrolled: 1-line block ×5, first 2 shown]
	ds_load_b64 v[18:19], v1 offset:16384
	ds_load_b64 v[20:21], v21 offset:18432
	;; [unrolled: 1-line block ×8, first 2 shown]
	v_add_co_u32 v34, s2, s2, v106
	v_mov_b32_e32 v1, 0
	v_add_co_ci_u32_e64 v35, null, s3, 0, s2
	s_mov_b32 s2, exec_lo
	v_cmpx_gt_u32_e64 s14, v0
	s_cbranch_execnz .LBB75_181
; %bb.107:
	s_or_b32 exec_lo, exec_lo, s2
	s_delay_alu instid0(SALU_CYCLE_1)
	s_mov_b32 s2, exec_lo
	v_cmpx_gt_u32_e64 s14, v105
	s_cbranch_execnz .LBB75_182
.LBB75_108:
	s_or_b32 exec_lo, exec_lo, s2
	s_delay_alu instid0(SALU_CYCLE_1)
	s_mov_b32 s2, exec_lo
	v_cmpx_gt_u32_e64 s14, v104
	s_cbranch_execnz .LBB75_183
.LBB75_109:
	s_or_b32 exec_lo, exec_lo, s2
	s_delay_alu instid0(SALU_CYCLE_1)
	s_mov_b32 s2, exec_lo
	v_cmpx_gt_u32_e64 s14, v103
	s_cbranch_execnz .LBB75_184
.LBB75_110:
	s_or_b32 exec_lo, exec_lo, s2
	s_delay_alu instid0(SALU_CYCLE_1)
	s_mov_b32 s2, exec_lo
	v_cmpx_gt_u32_e64 s14, v102
	s_cbranch_execnz .LBB75_185
.LBB75_111:
	s_or_b32 exec_lo, exec_lo, s2
	s_delay_alu instid0(SALU_CYCLE_1)
	s_mov_b32 s2, exec_lo
	v_cmpx_gt_u32_e64 s14, v101
	s_cbranch_execnz .LBB75_186
.LBB75_112:
	s_or_b32 exec_lo, exec_lo, s2
	s_delay_alu instid0(SALU_CYCLE_1)
	s_mov_b32 s2, exec_lo
	v_cmpx_gt_u32_e64 s14, v100
	s_cbranch_execnz .LBB75_187
.LBB75_113:
	s_or_b32 exec_lo, exec_lo, s2
	s_delay_alu instid0(SALU_CYCLE_1)
	s_mov_b32 s2, exec_lo
	v_cmpx_gt_u32_e64 s14, v99
	s_cbranch_execnz .LBB75_188
.LBB75_114:
	s_or_b32 exec_lo, exec_lo, s2
	s_delay_alu instid0(SALU_CYCLE_1)
	s_mov_b32 s2, exec_lo
	v_cmpx_gt_u32_e64 s14, v98
	s_cbranch_execnz .LBB75_189
.LBB75_115:
	s_or_b32 exec_lo, exec_lo, s2
	s_delay_alu instid0(SALU_CYCLE_1)
	s_mov_b32 s2, exec_lo
	v_cmpx_gt_u32_e64 s14, v97
	s_cbranch_execnz .LBB75_190
.LBB75_116:
	s_or_b32 exec_lo, exec_lo, s2
	s_delay_alu instid0(SALU_CYCLE_1)
	s_mov_b32 s2, exec_lo
	v_cmpx_gt_u32_e64 s14, v96
	s_cbranch_execnz .LBB75_191
.LBB75_117:
	s_or_b32 exec_lo, exec_lo, s2
	s_delay_alu instid0(SALU_CYCLE_1)
	s_mov_b32 s2, exec_lo
	v_cmpx_gt_u32_e64 s14, v95
	s_cbranch_execnz .LBB75_192
.LBB75_118:
	s_or_b32 exec_lo, exec_lo, s2
	s_delay_alu instid0(SALU_CYCLE_1)
	s_mov_b32 s2, exec_lo
	v_cmpx_gt_u32_e64 s14, v94
	s_cbranch_execnz .LBB75_193
.LBB75_119:
	s_or_b32 exec_lo, exec_lo, s2
	s_delay_alu instid0(SALU_CYCLE_1)
	s_mov_b32 s2, exec_lo
	v_cmpx_gt_u32_e64 s14, v93
	s_cbranch_execnz .LBB75_194
.LBB75_120:
	s_or_b32 exec_lo, exec_lo, s2
	s_delay_alu instid0(SALU_CYCLE_1)
	s_mov_b32 s2, exec_lo
	v_cmpx_gt_u32_e64 s14, v92
	s_cbranch_execnz .LBB75_195
.LBB75_121:
	s_or_b32 exec_lo, exec_lo, s2
	s_delay_alu instid0(SALU_CYCLE_1)
	s_mov_b32 s2, exec_lo
	v_cmpx_gt_u32_e64 s14, v91
	s_cbranch_execz .LBB75_123
.LBB75_122:
	v_add_co_u32 v34, vcc_lo, 0x7000, v34
	v_add_co_ci_u32_e32 v35, vcc_lo, 0, v35, vcc_lo
	s_waitcnt lgkmcnt(0)
	global_store_b64 v[34:35], v[32:33], off offset:2048
.LBB75_123:
	s_or_b32 exec_lo, exec_lo, s2
	s_load_b32 s0, s[0:1], 0x48
	s_waitcnt lgkmcnt(0)
	s_bfe_u32 s0, s0, 0x10008
	s_delay_alu instid0(SALU_CYCLE_1)
	s_cmp_eq_u32 s0, 0
	s_cbranch_scc1 .LBB75_178
; %bb.124:
	s_add_u32 s0, s14, -1
	s_addc_u32 s1, s16, -1
	s_delay_alu instid0(SALU_CYCLE_1)
	s_lshr_b64 s[2:3], s[0:1], 4
	s_mov_b32 s1, exec_lo
	v_cmpx_eq_u64_e64 s[2:3], v[0:1]
	s_cbranch_execz .LBB75_178
; %bb.125:
	s_and_b32 s0, s0, 15
	s_mov_b32 s1, 0
	s_delay_alu instid0(SALU_CYCLE_1) | instskip(NEXT) | instid1(VALU_DEP_1)
	v_cmp_lt_i64_e64 s2, s[0:1], 8
	s_and_b32 vcc_lo, exec_lo, s2
	s_mov_b32 s2, -1
	s_cbranch_vccnz .LBB75_152
; %bb.126:
	v_cmp_lt_i64_e64 s2, s[0:1], 12
	s_delay_alu instid0(VALU_DEP_1)
	s_and_b32 vcc_lo, exec_lo, s2
	s_mov_b32 s2, -1
	s_cbranch_vccnz .LBB75_139
; %bb.127:
	v_cmp_lt_i64_e64 s2, s[0:1], 14
	s_delay_alu instid0(VALU_DEP_1)
	s_and_b32 vcc_lo, exec_lo, s2
	s_mov_b32 s2, -1
	s_cbranch_vccnz .LBB75_133
; %bb.128:
	v_cmp_gt_i64_e64 s2, s[0:1], 14
	s_delay_alu instid0(VALU_DEP_1)
	s_and_b32 vcc_lo, exec_lo, s2
	s_mov_b32 s2, -1
	s_cbranch_vccz .LBB75_130
; %bb.129:
	v_mov_b32_e32 v0, 0
	s_mov_b32 s2, 0
	global_store_b64 v0, v[32:33], s[10:11]
.LBB75_130:
	s_and_not1_b32 vcc_lo, exec_lo, s2
	s_cbranch_vccnz .LBB75_132
; %bb.131:
	v_mov_b32_e32 v0, 0
	global_store_b64 v0, v[30:31], s[10:11]
.LBB75_132:
	s_mov_b32 s2, 0
.LBB75_133:
	s_delay_alu instid0(SALU_CYCLE_1)
	s_and_not1_b32 vcc_lo, exec_lo, s2
	s_cbranch_vccnz .LBB75_138
; %bb.134:
	v_cmp_gt_i64_e64 s2, s[0:1], 12
	s_delay_alu instid0(VALU_DEP_1)
	s_and_b32 vcc_lo, exec_lo, s2
	s_mov_b32 s2, -1
	s_cbranch_vccz .LBB75_136
; %bb.135:
	v_mov_b32_e32 v0, 0
	s_mov_b32 s2, 0
	global_store_b64 v0, v[28:29], s[10:11]
.LBB75_136:
	s_and_not1_b32 vcc_lo, exec_lo, s2
	s_cbranch_vccnz .LBB75_138
; %bb.137:
	v_mov_b32_e32 v0, 0
	global_store_b64 v0, v[26:27], s[10:11]
.LBB75_138:
	s_mov_b32 s2, 0
.LBB75_139:
	s_delay_alu instid0(SALU_CYCLE_1)
	s_and_not1_b32 vcc_lo, exec_lo, s2
	s_cbranch_vccnz .LBB75_151
; %bb.140:
	v_cmp_lt_i64_e64 s2, s[0:1], 10
	s_delay_alu instid0(VALU_DEP_1)
	s_and_b32 vcc_lo, exec_lo, s2
	s_mov_b32 s2, -1
	s_cbranch_vccnz .LBB75_146
; %bb.141:
	v_cmp_gt_i64_e64 s2, s[0:1], 10
	s_delay_alu instid0(VALU_DEP_1)
	s_and_b32 vcc_lo, exec_lo, s2
	s_mov_b32 s2, -1
	s_cbranch_vccz .LBB75_143
; %bb.142:
	v_mov_b32_e32 v0, 0
	s_mov_b32 s2, 0
	global_store_b64 v0, v[24:25], s[10:11]
.LBB75_143:
	s_and_not1_b32 vcc_lo, exec_lo, s2
	s_cbranch_vccnz .LBB75_145
; %bb.144:
	v_mov_b32_e32 v0, 0
	global_store_b64 v0, v[22:23], s[10:11]
.LBB75_145:
	s_mov_b32 s2, 0
.LBB75_146:
	s_delay_alu instid0(SALU_CYCLE_1)
	s_and_not1_b32 vcc_lo, exec_lo, s2
	s_cbranch_vccnz .LBB75_151
; %bb.147:
	v_cmp_gt_i64_e64 s2, s[0:1], 8
	s_delay_alu instid0(VALU_DEP_1)
	s_and_b32 vcc_lo, exec_lo, s2
	s_mov_b32 s2, -1
	s_cbranch_vccz .LBB75_149
; %bb.148:
	v_mov_b32_e32 v0, 0
	s_mov_b32 s2, 0
	global_store_b64 v0, v[20:21], s[10:11]
.LBB75_149:
	s_and_not1_b32 vcc_lo, exec_lo, s2
	s_cbranch_vccnz .LBB75_151
; %bb.150:
	v_mov_b32_e32 v0, 0
	global_store_b64 v0, v[18:19], s[10:11]
.LBB75_151:
	s_mov_b32 s2, 0
.LBB75_152:
	s_delay_alu instid0(SALU_CYCLE_1)
	s_and_not1_b32 vcc_lo, exec_lo, s2
	s_cbranch_vccnz .LBB75_178
; %bb.153:
	v_cmp_lt_i64_e64 s2, s[0:1], 4
	s_delay_alu instid0(VALU_DEP_1)
	s_and_b32 vcc_lo, exec_lo, s2
	s_mov_b32 s2, -1
	s_cbranch_vccnz .LBB75_166
; %bb.154:
	v_cmp_lt_i64_e64 s2, s[0:1], 6
	s_delay_alu instid0(VALU_DEP_1)
	s_and_b32 vcc_lo, exec_lo, s2
	s_mov_b32 s2, -1
	s_cbranch_vccnz .LBB75_160
; %bb.155:
	v_cmp_gt_i64_e64 s2, s[0:1], 6
	s_delay_alu instid0(VALU_DEP_1)
	s_and_b32 vcc_lo, exec_lo, s2
	s_mov_b32 s2, -1
	s_cbranch_vccz .LBB75_157
; %bb.156:
	v_mov_b32_e32 v0, 0
	s_mov_b32 s2, 0
	global_store_b64 v0, v[16:17], s[10:11]
.LBB75_157:
	s_and_not1_b32 vcc_lo, exec_lo, s2
	s_cbranch_vccnz .LBB75_159
; %bb.158:
	v_mov_b32_e32 v0, 0
	global_store_b64 v0, v[14:15], s[10:11]
.LBB75_159:
	s_mov_b32 s2, 0
.LBB75_160:
	s_delay_alu instid0(SALU_CYCLE_1)
	s_and_not1_b32 vcc_lo, exec_lo, s2
	s_cbranch_vccnz .LBB75_165
; %bb.161:
	v_cmp_gt_i64_e64 s2, s[0:1], 4
	s_delay_alu instid0(VALU_DEP_1)
	s_and_b32 vcc_lo, exec_lo, s2
	s_mov_b32 s2, -1
	s_cbranch_vccz .LBB75_163
; %bb.162:
	v_mov_b32_e32 v0, 0
	s_mov_b32 s2, 0
	global_store_b64 v0, v[12:13], s[10:11]
.LBB75_163:
	s_and_not1_b32 vcc_lo, exec_lo, s2
	s_cbranch_vccnz .LBB75_165
; %bb.164:
	v_mov_b32_e32 v0, 0
	global_store_b64 v0, v[10:11], s[10:11]
.LBB75_165:
	s_mov_b32 s2, 0
.LBB75_166:
	s_delay_alu instid0(SALU_CYCLE_1)
	s_and_not1_b32 vcc_lo, exec_lo, s2
	s_cbranch_vccnz .LBB75_178
; %bb.167:
	v_cmp_lt_i64_e64 s2, s[0:1], 2
	s_delay_alu instid0(VALU_DEP_1)
	s_and_b32 vcc_lo, exec_lo, s2
	s_mov_b32 s2, -1
	s_cbranch_vccnz .LBB75_173
; %bb.168:
	v_cmp_gt_i64_e64 s2, s[0:1], 2
	s_delay_alu instid0(VALU_DEP_1)
	s_and_b32 vcc_lo, exec_lo, s2
	s_mov_b32 s2, -1
	s_cbranch_vccz .LBB75_170
; %bb.169:
	v_mov_b32_e32 v0, 0
	s_mov_b32 s2, 0
	global_store_b64 v0, v[8:9], s[10:11]
.LBB75_170:
	s_and_not1_b32 vcc_lo, exec_lo, s2
	s_cbranch_vccnz .LBB75_172
; %bb.171:
	v_mov_b32_e32 v0, 0
	global_store_b64 v0, v[6:7], s[10:11]
.LBB75_172:
	s_mov_b32 s2, 0
.LBB75_173:
	s_delay_alu instid0(SALU_CYCLE_1)
	s_and_not1_b32 vcc_lo, exec_lo, s2
	s_cbranch_vccnz .LBB75_178
; %bb.174:
	s_cmp_eq_u64 s[0:1], 1
	s_mov_b32 s0, -1
	s_cbranch_scc1 .LBB75_176
; %bb.175:
	v_mov_b32_e32 v0, 0
	s_mov_b32 s0, 0
	global_store_b64 v0, v[4:5], s[10:11]
.LBB75_176:
	s_and_not1_b32 vcc_lo, exec_lo, s0
	s_cbranch_vccnz .LBB75_178
; %bb.177:
	v_mov_b32_e32 v0, 0
	global_store_b64 v0, v[2:3], s[10:11]
.LBB75_178:
	s_nop 0
	s_sendmsg sendmsg(MSG_DEALLOC_VGPRS)
	s_endpgm
.LBB75_179:
	v_add_nc_u32_e32 v35, -1, v0
	s_delay_alu instid0(VALU_DEP_1) | instskip(NEXT) | instid1(VALU_DEP_1)
	v_lshrrev_b32_e32 v36, 5, v35
	v_add_lshl_u32 v35, v36, v35, 3
	ds_load_b64 v[35:36], v35
	s_or_b32 exec_lo, exec_lo, s3
	s_and_saveexec_b32 s3, s2
	s_cbranch_execz .LBB75_100
.LBB75_180:
	s_waitcnt lgkmcnt(0)
	v_mul_f32_e32 v39, v35, v2
	v_mul_f32_e32 v2, v36, v2
	s_delay_alu instid0(VALU_DEP_2) | instskip(NEXT) | instid1(VALU_DEP_2)
	v_fmac_f32_e32 v39, v36, v1
	v_fma_f32 v1, v35, v1, -v2
	s_delay_alu instid0(VALU_DEP_2) | instskip(NEXT) | instid1(VALU_DEP_2)
	v_mul_f32_e32 v2, v39, v4
	v_mul_f32_e32 v76, v1, v4
	s_delay_alu instid0(VALU_DEP_2) | instskip(NEXT) | instid1(VALU_DEP_1)
	v_fma_f32 v75, v1, v3, -v2
	v_mul_f32_e32 v34, v75, v30
	s_delay_alu instid0(VALU_DEP_3) | instskip(NEXT) | instid1(VALU_DEP_1)
	v_fmac_f32_e32 v76, v39, v3
	v_mul_f32_e32 v2, v76, v30
	s_delay_alu instid0(VALU_DEP_3) | instskip(NEXT) | instid1(VALU_DEP_2)
	v_fmac_f32_e32 v34, v76, v29
	v_fma_f32 v33, v75, v29, -v2
	s_delay_alu instid0(VALU_DEP_2) | instskip(SKIP_1) | instid1(VALU_DEP_2)
	v_mul_f32_e32 v78, v34, v31
	v_mul_f32_e32 v2, v34, v32
	v_fmac_f32_e32 v78, v33, v32
	s_delay_alu instid0(VALU_DEP_2) | instskip(NEXT) | instid1(VALU_DEP_2)
	v_fma_f32 v77, v33, v31, -v2
	v_mul_f32_e32 v38, v78, v25
	v_mul_f32_e32 v2, v78, v26
	s_delay_alu instid0(VALU_DEP_2) | instskip(NEXT) | instid1(VALU_DEP_2)
	v_fmac_f32_e32 v38, v77, v26
	v_fma_f32 v37, v77, v25, -v2
	s_delay_alu instid0(VALU_DEP_2) | instskip(SKIP_1) | instid1(VALU_DEP_2)
	v_mul_f32_e32 v80, v38, v27
	v_mul_f32_e32 v2, v38, v28
	v_fmac_f32_e32 v80, v37, v28
	s_delay_alu instid0(VALU_DEP_2) | instskip(NEXT) | instid1(VALU_DEP_2)
	v_fma_f32 v79, v37, v27, -v2
	v_mul_f32_e32 v42, v80, v21
	v_mul_f32_e32 v2, v80, v22
	s_delay_alu instid0(VALU_DEP_2) | instskip(NEXT) | instid1(VALU_DEP_2)
	;; [unrolled: 11-line block ×6, first 2 shown]
	v_fmac_f32_e32 v58, v87, v6
	v_fma_f32 v57, v87, v5, -v2
	s_delay_alu instid0(VALU_DEP_2) | instskip(SKIP_1) | instid1(VALU_DEP_2)
	v_mul_f32_e32 v2, v8, v58
	v_mul_f32_e32 v90, v7, v58
	v_fma_f32 v89, v7, v57, -v2
	s_delay_alu instid0(VALU_DEP_2)
	v_fmac_f32_e32 v90, v8, v57
	v_mov_b32_e32 v2, v39
	s_or_b32 exec_lo, exec_lo, s3
	s_and_saveexec_b32 s2, vcc_lo
	s_cbranch_execnz .LBB75_101
	s_branch .LBB75_102
.LBB75_181:
	ds_load_b64 v[36:37], v36
	s_waitcnt lgkmcnt(0)
	global_store_b64 v[34:35], v[36:37], off
	s_or_b32 exec_lo, exec_lo, s2
	s_delay_alu instid0(SALU_CYCLE_1)
	s_mov_b32 s2, exec_lo
	v_cmpx_gt_u32_e64 s14, v105
	s_cbranch_execz .LBB75_108
.LBB75_182:
	s_waitcnt lgkmcnt(14)
	global_store_b64 v[34:35], v[2:3], off offset:2048
	s_or_b32 exec_lo, exec_lo, s2
	s_delay_alu instid0(SALU_CYCLE_1)
	s_mov_b32 s2, exec_lo
	v_cmpx_gt_u32_e64 s14, v104
	s_cbranch_execz .LBB75_109
.LBB75_183:
	v_add_co_u32 v36, vcc_lo, 0x1000, v34
	v_add_co_ci_u32_e32 v37, vcc_lo, 0, v35, vcc_lo
	s_waitcnt lgkmcnt(13)
	global_store_b64 v[36:37], v[6:7], off
	s_or_b32 exec_lo, exec_lo, s2
	s_delay_alu instid0(SALU_CYCLE_1)
	s_mov_b32 s2, exec_lo
	v_cmpx_gt_u32_e64 s14, v103
	s_cbranch_execz .LBB75_110
.LBB75_184:
	v_add_co_u32 v36, vcc_lo, 0x1000, v34
	v_add_co_ci_u32_e32 v37, vcc_lo, 0, v35, vcc_lo
	s_waitcnt lgkmcnt(12)
	global_store_b64 v[36:37], v[8:9], off offset:2048
	s_or_b32 exec_lo, exec_lo, s2
	s_delay_alu instid0(SALU_CYCLE_1)
	s_mov_b32 s2, exec_lo
	v_cmpx_gt_u32_e64 s14, v102
	s_cbranch_execz .LBB75_111
.LBB75_185:
	v_add_co_u32 v36, vcc_lo, 0x2000, v34
	v_add_co_ci_u32_e32 v37, vcc_lo, 0, v35, vcc_lo
	s_waitcnt lgkmcnt(11)
	global_store_b64 v[36:37], v[10:11], off
	s_or_b32 exec_lo, exec_lo, s2
	s_delay_alu instid0(SALU_CYCLE_1)
	s_mov_b32 s2, exec_lo
	v_cmpx_gt_u32_e64 s14, v101
	s_cbranch_execz .LBB75_112
.LBB75_186:
	v_add_co_u32 v36, vcc_lo, 0x2000, v34
	v_add_co_ci_u32_e32 v37, vcc_lo, 0, v35, vcc_lo
	s_waitcnt lgkmcnt(10)
	global_store_b64 v[36:37], v[12:13], off offset:2048
	s_or_b32 exec_lo, exec_lo, s2
	s_delay_alu instid0(SALU_CYCLE_1)
	s_mov_b32 s2, exec_lo
	v_cmpx_gt_u32_e64 s14, v100
	s_cbranch_execz .LBB75_113
.LBB75_187:
	v_add_co_u32 v36, vcc_lo, 0x3000, v34
	v_add_co_ci_u32_e32 v37, vcc_lo, 0, v35, vcc_lo
	s_waitcnt lgkmcnt(9)
	global_store_b64 v[36:37], v[14:15], off
	s_or_b32 exec_lo, exec_lo, s2
	s_delay_alu instid0(SALU_CYCLE_1)
	s_mov_b32 s2, exec_lo
	v_cmpx_gt_u32_e64 s14, v99
	s_cbranch_execz .LBB75_114
.LBB75_188:
	v_add_co_u32 v36, vcc_lo, 0x3000, v34
	v_add_co_ci_u32_e32 v37, vcc_lo, 0, v35, vcc_lo
	s_waitcnt lgkmcnt(8)
	global_store_b64 v[36:37], v[16:17], off offset:2048
	s_or_b32 exec_lo, exec_lo, s2
	s_delay_alu instid0(SALU_CYCLE_1)
	s_mov_b32 s2, exec_lo
	v_cmpx_gt_u32_e64 s14, v98
	s_cbranch_execz .LBB75_115
.LBB75_189:
	v_add_co_u32 v36, vcc_lo, 0x4000, v34
	v_add_co_ci_u32_e32 v37, vcc_lo, 0, v35, vcc_lo
	s_waitcnt lgkmcnt(7)
	global_store_b64 v[36:37], v[18:19], off
	s_or_b32 exec_lo, exec_lo, s2
	s_delay_alu instid0(SALU_CYCLE_1)
	s_mov_b32 s2, exec_lo
	v_cmpx_gt_u32_e64 s14, v97
	s_cbranch_execz .LBB75_116
.LBB75_190:
	v_add_co_u32 v36, vcc_lo, 0x4000, v34
	v_add_co_ci_u32_e32 v37, vcc_lo, 0, v35, vcc_lo
	s_waitcnt lgkmcnt(6)
	global_store_b64 v[36:37], v[20:21], off offset:2048
	s_or_b32 exec_lo, exec_lo, s2
	s_delay_alu instid0(SALU_CYCLE_1)
	s_mov_b32 s2, exec_lo
	v_cmpx_gt_u32_e64 s14, v96
	s_cbranch_execz .LBB75_117
.LBB75_191:
	v_add_co_u32 v36, vcc_lo, 0x5000, v34
	v_add_co_ci_u32_e32 v37, vcc_lo, 0, v35, vcc_lo
	s_waitcnt lgkmcnt(5)
	global_store_b64 v[36:37], v[22:23], off
	s_or_b32 exec_lo, exec_lo, s2
	s_delay_alu instid0(SALU_CYCLE_1)
	s_mov_b32 s2, exec_lo
	v_cmpx_gt_u32_e64 s14, v95
	s_cbranch_execz .LBB75_118
.LBB75_192:
	v_add_co_u32 v36, vcc_lo, 0x5000, v34
	v_add_co_ci_u32_e32 v37, vcc_lo, 0, v35, vcc_lo
	s_waitcnt lgkmcnt(4)
	global_store_b64 v[36:37], v[24:25], off offset:2048
	s_or_b32 exec_lo, exec_lo, s2
	s_delay_alu instid0(SALU_CYCLE_1)
	s_mov_b32 s2, exec_lo
	v_cmpx_gt_u32_e64 s14, v94
	s_cbranch_execz .LBB75_119
.LBB75_193:
	v_add_co_u32 v36, vcc_lo, 0x6000, v34
	v_add_co_ci_u32_e32 v37, vcc_lo, 0, v35, vcc_lo
	s_waitcnt lgkmcnt(3)
	global_store_b64 v[36:37], v[26:27], off
	s_or_b32 exec_lo, exec_lo, s2
	s_delay_alu instid0(SALU_CYCLE_1)
	s_mov_b32 s2, exec_lo
	v_cmpx_gt_u32_e64 s14, v93
	s_cbranch_execz .LBB75_120
.LBB75_194:
	v_add_co_u32 v36, vcc_lo, 0x6000, v34
	v_add_co_ci_u32_e32 v37, vcc_lo, 0, v35, vcc_lo
	s_waitcnt lgkmcnt(2)
	global_store_b64 v[36:37], v[28:29], off offset:2048
	s_or_b32 exec_lo, exec_lo, s2
	s_delay_alu instid0(SALU_CYCLE_1)
	s_mov_b32 s2, exec_lo
	v_cmpx_gt_u32_e64 s14, v92
	s_cbranch_execz .LBB75_121
.LBB75_195:
	v_add_co_u32 v36, vcc_lo, 0x7000, v34
	v_add_co_ci_u32_e32 v37, vcc_lo, 0, v35, vcc_lo
	s_waitcnt lgkmcnt(1)
	global_store_b64 v[36:37], v[30:31], off
	s_or_b32 exec_lo, exec_lo, s2
	s_delay_alu instid0(SALU_CYCLE_1)
	s_mov_b32 s2, exec_lo
	v_cmpx_gt_u32_e64 s14, v91
	s_cbranch_execnz .LBB75_122
	s_branch .LBB75_123
	.section	.rodata,"a",@progbits
	.p2align	6, 0x0
	.amdhsa_kernel _ZN7rocprim17ROCPRIM_304000_NS6detail20lookback_scan_kernelILNS1_25lookback_scan_determinismE0ELb0ENS1_19wrapped_scan_configINS0_14default_configEN3c107complexIfEEEEPKS8_PS8_St10multipliesIS8_ES8_S8_NS1_19lookback_scan_stateIS8_Lb0ELb1EEEEEvT2_T3_mT5_T4_T7_jPT6_SN_bb
		.amdhsa_group_segment_fixed_size 33792
		.amdhsa_private_segment_fixed_size 0
		.amdhsa_kernarg_size 76
		.amdhsa_user_sgpr_count 15
		.amdhsa_user_sgpr_dispatch_ptr 0
		.amdhsa_user_sgpr_queue_ptr 0
		.amdhsa_user_sgpr_kernarg_segment_ptr 1
		.amdhsa_user_sgpr_dispatch_id 0
		.amdhsa_user_sgpr_private_segment_size 0
		.amdhsa_wavefront_size32 1
		.amdhsa_uses_dynamic_stack 0
		.amdhsa_enable_private_segment 0
		.amdhsa_system_sgpr_workgroup_id_x 1
		.amdhsa_system_sgpr_workgroup_id_y 0
		.amdhsa_system_sgpr_workgroup_id_z 0
		.amdhsa_system_sgpr_workgroup_info 0
		.amdhsa_system_vgpr_workitem_id 0
		.amdhsa_next_free_vgpr 109
		.amdhsa_next_free_sgpr 26
		.amdhsa_reserve_vcc 1
		.amdhsa_float_round_mode_32 0
		.amdhsa_float_round_mode_16_64 0
		.amdhsa_float_denorm_mode_32 3
		.amdhsa_float_denorm_mode_16_64 3
		.amdhsa_dx10_clamp 1
		.amdhsa_ieee_mode 1
		.amdhsa_fp16_overflow 0
		.amdhsa_workgroup_processor_mode 1
		.amdhsa_memory_ordered 1
		.amdhsa_forward_progress 0
		.amdhsa_shared_vgpr_count 0
		.amdhsa_exception_fp_ieee_invalid_op 0
		.amdhsa_exception_fp_denorm_src 0
		.amdhsa_exception_fp_ieee_div_zero 0
		.amdhsa_exception_fp_ieee_overflow 0
		.amdhsa_exception_fp_ieee_underflow 0
		.amdhsa_exception_fp_ieee_inexact 0
		.amdhsa_exception_int_div_zero 0
	.end_amdhsa_kernel
	.section	.text._ZN7rocprim17ROCPRIM_304000_NS6detail20lookback_scan_kernelILNS1_25lookback_scan_determinismE0ELb0ENS1_19wrapped_scan_configINS0_14default_configEN3c107complexIfEEEEPKS8_PS8_St10multipliesIS8_ES8_S8_NS1_19lookback_scan_stateIS8_Lb0ELb1EEEEEvT2_T3_mT5_T4_T7_jPT6_SN_bb,"axG",@progbits,_ZN7rocprim17ROCPRIM_304000_NS6detail20lookback_scan_kernelILNS1_25lookback_scan_determinismE0ELb0ENS1_19wrapped_scan_configINS0_14default_configEN3c107complexIfEEEEPKS8_PS8_St10multipliesIS8_ES8_S8_NS1_19lookback_scan_stateIS8_Lb0ELb1EEEEEvT2_T3_mT5_T4_T7_jPT6_SN_bb,comdat
.Lfunc_end75:
	.size	_ZN7rocprim17ROCPRIM_304000_NS6detail20lookback_scan_kernelILNS1_25lookback_scan_determinismE0ELb0ENS1_19wrapped_scan_configINS0_14default_configEN3c107complexIfEEEEPKS8_PS8_St10multipliesIS8_ES8_S8_NS1_19lookback_scan_stateIS8_Lb0ELb1EEEEEvT2_T3_mT5_T4_T7_jPT6_SN_bb, .Lfunc_end75-_ZN7rocprim17ROCPRIM_304000_NS6detail20lookback_scan_kernelILNS1_25lookback_scan_determinismE0ELb0ENS1_19wrapped_scan_configINS0_14default_configEN3c107complexIfEEEEPKS8_PS8_St10multipliesIS8_ES8_S8_NS1_19lookback_scan_stateIS8_Lb0ELb1EEEEEvT2_T3_mT5_T4_T7_jPT6_SN_bb
                                        ; -- End function
	.section	.AMDGPU.csdata,"",@progbits
; Kernel info:
; codeLenInByte = 11612
; NumSgprs: 28
; NumVgprs: 109
; ScratchSize: 0
; MemoryBound: 0
; FloatMode: 240
; IeeeMode: 1
; LDSByteSize: 33792 bytes/workgroup (compile time only)
; SGPRBlocks: 3
; VGPRBlocks: 13
; NumSGPRsForWavesPerEU: 28
; NumVGPRsForWavesPerEU: 109
; Occupancy: 6
; WaveLimiterHint : 1
; COMPUTE_PGM_RSRC2:SCRATCH_EN: 0
; COMPUTE_PGM_RSRC2:USER_SGPR: 15
; COMPUTE_PGM_RSRC2:TRAP_HANDLER: 0
; COMPUTE_PGM_RSRC2:TGID_X_EN: 1
; COMPUTE_PGM_RSRC2:TGID_Y_EN: 0
; COMPUTE_PGM_RSRC2:TGID_Z_EN: 0
; COMPUTE_PGM_RSRC2:TIDIG_COMP_CNT: 0
	.section	.text._ZN7rocprim17ROCPRIM_304000_NS6detail16transform_kernelINS1_24wrapped_transform_configINS0_14default_configEN3c107complexIfEEEES7_PS7_S9_NS0_8identityIS7_EEEEvT1_mT2_T3_,"axG",@progbits,_ZN7rocprim17ROCPRIM_304000_NS6detail16transform_kernelINS1_24wrapped_transform_configINS0_14default_configEN3c107complexIfEEEES7_PS7_S9_NS0_8identityIS7_EEEEvT1_mT2_T3_,comdat
	.protected	_ZN7rocprim17ROCPRIM_304000_NS6detail16transform_kernelINS1_24wrapped_transform_configINS0_14default_configEN3c107complexIfEEEES7_PS7_S9_NS0_8identityIS7_EEEEvT1_mT2_T3_ ; -- Begin function _ZN7rocprim17ROCPRIM_304000_NS6detail16transform_kernelINS1_24wrapped_transform_configINS0_14default_configEN3c107complexIfEEEES7_PS7_S9_NS0_8identityIS7_EEEEvT1_mT2_T3_
	.globl	_ZN7rocprim17ROCPRIM_304000_NS6detail16transform_kernelINS1_24wrapped_transform_configINS0_14default_configEN3c107complexIfEEEES7_PS7_S9_NS0_8identityIS7_EEEEvT1_mT2_T3_
	.p2align	8
	.type	_ZN7rocprim17ROCPRIM_304000_NS6detail16transform_kernelINS1_24wrapped_transform_configINS0_14default_configEN3c107complexIfEEEES7_PS7_S9_NS0_8identityIS7_EEEEvT1_mT2_T3_,@function
_ZN7rocprim17ROCPRIM_304000_NS6detail16transform_kernelINS1_24wrapped_transform_configINS0_14default_configEN3c107complexIfEEEES7_PS7_S9_NS0_8identityIS7_EEEEvT1_mT2_T3_: ; @_ZN7rocprim17ROCPRIM_304000_NS6detail16transform_kernelINS1_24wrapped_transform_configINS0_14default_configEN3c107complexIfEEEES7_PS7_S9_NS0_8identityIS7_EEEEvT1_mT2_T3_
; %bb.0:
	s_clause 0x1
	s_load_b32 s2, s[0:1], 0x20
	s_load_b128 s[4:7], s[0:1], 0x0
	s_waitcnt lgkmcnt(0)
	s_add_i32 s3, s2, -1
	s_lshl_b32 s2, s15, 9
	s_cmp_lg_u32 s15, s3
	s_cselect_b32 s3, -1, 0
	s_sub_i32 s6, s6, s2
	s_delay_alu instid0(SALU_CYCLE_1) | instskip(SKIP_1) | instid1(SALU_CYCLE_1)
	v_cmp_gt_u32_e32 vcc_lo, s6, v0
	s_or_b32 s3, vcc_lo, s3
	s_and_saveexec_b32 s6, s3
	s_cbranch_execz .LBB76_2
; %bb.1:
	s_load_b64 s[0:1], s[0:1], 0x10
	s_mov_b32 s3, 0
	v_lshlrev_b32_e32 v2, 3, v0
	s_lshl_b64 s[2:3], s[2:3], 3
	s_waitcnt lgkmcnt(0)
	s_add_u32 s0, s0, s2
	s_addc_u32 s1, s1, s3
	s_add_u32 s2, s4, s2
	s_addc_u32 s3, s5, s3
	global_load_b64 v[0:1], v2, s[2:3]
	s_waitcnt vmcnt(0)
	global_store_b64 v2, v[0:1], s[0:1]
.LBB76_2:
	s_nop 0
	s_sendmsg sendmsg(MSG_DEALLOC_VGPRS)
	s_endpgm
	.section	.rodata,"a",@progbits
	.p2align	6, 0x0
	.amdhsa_kernel _ZN7rocprim17ROCPRIM_304000_NS6detail16transform_kernelINS1_24wrapped_transform_configINS0_14default_configEN3c107complexIfEEEES7_PS7_S9_NS0_8identityIS7_EEEEvT1_mT2_T3_
		.amdhsa_group_segment_fixed_size 0
		.amdhsa_private_segment_fixed_size 0
		.amdhsa_kernarg_size 288
		.amdhsa_user_sgpr_count 15
		.amdhsa_user_sgpr_dispatch_ptr 0
		.amdhsa_user_sgpr_queue_ptr 0
		.amdhsa_user_sgpr_kernarg_segment_ptr 1
		.amdhsa_user_sgpr_dispatch_id 0
		.amdhsa_user_sgpr_private_segment_size 0
		.amdhsa_wavefront_size32 1
		.amdhsa_uses_dynamic_stack 0
		.amdhsa_enable_private_segment 0
		.amdhsa_system_sgpr_workgroup_id_x 1
		.amdhsa_system_sgpr_workgroup_id_y 0
		.amdhsa_system_sgpr_workgroup_id_z 0
		.amdhsa_system_sgpr_workgroup_info 0
		.amdhsa_system_vgpr_workitem_id 0
		.amdhsa_next_free_vgpr 3
		.amdhsa_next_free_sgpr 16
		.amdhsa_reserve_vcc 1
		.amdhsa_float_round_mode_32 0
		.amdhsa_float_round_mode_16_64 0
		.amdhsa_float_denorm_mode_32 3
		.amdhsa_float_denorm_mode_16_64 3
		.amdhsa_dx10_clamp 1
		.amdhsa_ieee_mode 1
		.amdhsa_fp16_overflow 0
		.amdhsa_workgroup_processor_mode 1
		.amdhsa_memory_ordered 1
		.amdhsa_forward_progress 0
		.amdhsa_shared_vgpr_count 0
		.amdhsa_exception_fp_ieee_invalid_op 0
		.amdhsa_exception_fp_denorm_src 0
		.amdhsa_exception_fp_ieee_div_zero 0
		.amdhsa_exception_fp_ieee_overflow 0
		.amdhsa_exception_fp_ieee_underflow 0
		.amdhsa_exception_fp_ieee_inexact 0
		.amdhsa_exception_int_div_zero 0
	.end_amdhsa_kernel
	.section	.text._ZN7rocprim17ROCPRIM_304000_NS6detail16transform_kernelINS1_24wrapped_transform_configINS0_14default_configEN3c107complexIfEEEES7_PS7_S9_NS0_8identityIS7_EEEEvT1_mT2_T3_,"axG",@progbits,_ZN7rocprim17ROCPRIM_304000_NS6detail16transform_kernelINS1_24wrapped_transform_configINS0_14default_configEN3c107complexIfEEEES7_PS7_S9_NS0_8identityIS7_EEEEvT1_mT2_T3_,comdat
.Lfunc_end76:
	.size	_ZN7rocprim17ROCPRIM_304000_NS6detail16transform_kernelINS1_24wrapped_transform_configINS0_14default_configEN3c107complexIfEEEES7_PS7_S9_NS0_8identityIS7_EEEEvT1_mT2_T3_, .Lfunc_end76-_ZN7rocprim17ROCPRIM_304000_NS6detail16transform_kernelINS1_24wrapped_transform_configINS0_14default_configEN3c107complexIfEEEES7_PS7_S9_NS0_8identityIS7_EEEEvT1_mT2_T3_
                                        ; -- End function
	.section	.AMDGPU.csdata,"",@progbits
; Kernel info:
; codeLenInByte = 136
; NumSgprs: 18
; NumVgprs: 3
; ScratchSize: 0
; MemoryBound: 0
; FloatMode: 240
; IeeeMode: 1
; LDSByteSize: 0 bytes/workgroup (compile time only)
; SGPRBlocks: 2
; VGPRBlocks: 0
; NumSGPRsForWavesPerEU: 18
; NumVGPRsForWavesPerEU: 3
; Occupancy: 16
; WaveLimiterHint : 0
; COMPUTE_PGM_RSRC2:SCRATCH_EN: 0
; COMPUTE_PGM_RSRC2:USER_SGPR: 15
; COMPUTE_PGM_RSRC2:TRAP_HANDLER: 0
; COMPUTE_PGM_RSRC2:TGID_X_EN: 1
; COMPUTE_PGM_RSRC2:TGID_Y_EN: 0
; COMPUTE_PGM_RSRC2:TGID_Z_EN: 0
; COMPUTE_PGM_RSRC2:TIDIG_COMP_CNT: 0
	.section	.text._ZN7rocprim17ROCPRIM_304000_NS6detail18single_scan_kernelILb0ENS1_19wrapped_scan_configINS0_14default_configEN3c107complexIfEEEEPKS7_PS7_St10multipliesIS7_ES7_S7_EEvT1_mT4_T2_T3_,"axG",@progbits,_ZN7rocprim17ROCPRIM_304000_NS6detail18single_scan_kernelILb0ENS1_19wrapped_scan_configINS0_14default_configEN3c107complexIfEEEEPKS7_PS7_St10multipliesIS7_ES7_S7_EEvT1_mT4_T2_T3_,comdat
	.protected	_ZN7rocprim17ROCPRIM_304000_NS6detail18single_scan_kernelILb0ENS1_19wrapped_scan_configINS0_14default_configEN3c107complexIfEEEEPKS7_PS7_St10multipliesIS7_ES7_S7_EEvT1_mT4_T2_T3_ ; -- Begin function _ZN7rocprim17ROCPRIM_304000_NS6detail18single_scan_kernelILb0ENS1_19wrapped_scan_configINS0_14default_configEN3c107complexIfEEEEPKS7_PS7_St10multipliesIS7_ES7_S7_EEvT1_mT4_T2_T3_
	.globl	_ZN7rocprim17ROCPRIM_304000_NS6detail18single_scan_kernelILb0ENS1_19wrapped_scan_configINS0_14default_configEN3c107complexIfEEEEPKS7_PS7_St10multipliesIS7_ES7_S7_EEvT1_mT4_T2_T3_
	.p2align	8
	.type	_ZN7rocprim17ROCPRIM_304000_NS6detail18single_scan_kernelILb0ENS1_19wrapped_scan_configINS0_14default_configEN3c107complexIfEEEEPKS7_PS7_St10multipliesIS7_ES7_S7_EEvT1_mT4_T2_T3_,@function
_ZN7rocprim17ROCPRIM_304000_NS6detail18single_scan_kernelILb0ENS1_19wrapped_scan_configINS0_14default_configEN3c107complexIfEEEEPKS7_PS7_St10multipliesIS7_ES7_S7_EEvT1_mT4_T2_T3_: ; @_ZN7rocprim17ROCPRIM_304000_NS6detail18single_scan_kernelILb0ENS1_19wrapped_scan_configINS0_14default_configEN3c107complexIfEEEEPKS7_PS7_St10multipliesIS7_ES7_S7_EEvT1_mT4_T2_T3_
; %bb.0:
	s_load_b128 s[16:19], s[0:1], 0x0
	s_waitcnt lgkmcnt(0)
	s_load_b64 s[20:21], s[16:17], 0x0
	v_lshlrev_b32_e32 v77, 3, v0
	v_cmp_gt_u32_e32 vcc_lo, s18, v0
	s_waitcnt lgkmcnt(0)
	v_mov_b32_e32 v2, s21
	s_delay_alu instid0(VALU_DEP_3) | instskip(NEXT) | instid1(VALU_DEP_1)
	v_add_co_u32 v7, s2, s16, v77
	v_add_co_ci_u32_e64 v8, null, s17, 0, s2
	v_mov_b32_e32 v1, s20
	s_and_saveexec_b32 s2, vcc_lo
	s_cbranch_execz .LBB77_2
; %bb.1:
	global_load_b64 v[1:2], v[7:8], off
.LBB77_2:
	s_or_b32 exec_lo, exec_lo, s2
	v_or_b32_e32 v35, 0x100, v0
	v_dual_mov_b32 v4, s21 :: v_dual_mov_b32 v3, s20
	s_delay_alu instid0(VALU_DEP_2) | instskip(NEXT) | instid1(VALU_DEP_1)
	v_cmp_gt_u32_e64 s2, s18, v35
	s_and_saveexec_b32 s3, s2
	s_cbranch_execz .LBB77_4
; %bb.3:
	global_load_b64 v[3:4], v[7:8], off offset:2048
.LBB77_4:
	s_or_b32 exec_lo, exec_lo, s3
	v_or_b32_e32 v36, 0x200, v0
	v_dual_mov_b32 v6, s21 :: v_dual_mov_b32 v5, s20
	s_delay_alu instid0(VALU_DEP_2) | instskip(NEXT) | instid1(VALU_DEP_1)
	v_cmp_gt_u32_e64 s3, s18, v36
	s_and_saveexec_b32 s5, s3
	s_cbranch_execz .LBB77_6
; %bb.5:
	v_add_co_u32 v5, s4, 0x1000, v7
	s_delay_alu instid0(VALU_DEP_1)
	v_add_co_ci_u32_e64 v6, s4, 0, v8, s4
	global_load_b64 v[5:6], v[5:6], off
.LBB77_6:
	s_or_b32 exec_lo, exec_lo, s5
	v_or_b32_e32 v37, 0x300, v0
	v_dual_mov_b32 v10, s21 :: v_dual_mov_b32 v9, s20
	s_delay_alu instid0(VALU_DEP_2) | instskip(NEXT) | instid1(VALU_DEP_1)
	v_cmp_gt_u32_e64 s4, s18, v37
	s_and_saveexec_b32 s6, s4
	s_cbranch_execz .LBB77_8
; %bb.7:
	v_add_co_u32 v9, s5, 0x1000, v7
	s_delay_alu instid0(VALU_DEP_1)
	v_add_co_ci_u32_e64 v10, s5, 0, v8, s5
	global_load_b64 v[9:10], v[9:10], off offset:2048
.LBB77_8:
	s_or_b32 exec_lo, exec_lo, s6
	v_or_b32_e32 v38, 0x400, v0
	v_dual_mov_b32 v12, s21 :: v_dual_mov_b32 v11, s20
	s_delay_alu instid0(VALU_DEP_2) | instskip(NEXT) | instid1(VALU_DEP_1)
	v_cmp_gt_u32_e64 s5, s18, v38
	s_and_saveexec_b32 s7, s5
	s_cbranch_execz .LBB77_10
; %bb.9:
	v_add_co_u32 v11, s6, 0x2000, v7
	s_delay_alu instid0(VALU_DEP_1)
	v_add_co_ci_u32_e64 v12, s6, 0, v8, s6
	global_load_b64 v[11:12], v[11:12], off
.LBB77_10:
	s_or_b32 exec_lo, exec_lo, s7
	v_or_b32_e32 v39, 0x500, v0
	v_dual_mov_b32 v14, s21 :: v_dual_mov_b32 v13, s20
	s_delay_alu instid0(VALU_DEP_2) | instskip(NEXT) | instid1(VALU_DEP_1)
	v_cmp_gt_u32_e64 s6, s18, v39
	s_and_saveexec_b32 s8, s6
	s_cbranch_execz .LBB77_12
; %bb.11:
	v_add_co_u32 v13, s7, 0x2000, v7
	s_delay_alu instid0(VALU_DEP_1)
	v_add_co_ci_u32_e64 v14, s7, 0, v8, s7
	global_load_b64 v[13:14], v[13:14], off offset:2048
.LBB77_12:
	;; [unrolled: 26-line block ×7, first 2 shown]
	s_or_b32 exec_lo, exec_lo, s18
	v_lshrrev_b32_e32 v7, 2, v0
	v_lshrrev_b32_e32 v8, 2, v35
	;; [unrolled: 1-line block ×5, first 2 shown]
	v_and_b32_e32 v7, 56, v7
	v_and_b32_e32 v8, 0x78, v8
	v_lshrrev_b32_e32 v38, 2, v39
	v_and_b32_e32 v35, 0xf8, v35
	s_mov_b32 s18, exec_lo
	v_add_nc_u32_e32 v78, v7, v77
	v_add_nc_u32_e32 v79, v8, v77
	v_and_b32_e32 v7, 0xf8, v36
	v_and_b32_e32 v8, 0x1f8, v37
	v_add_nc_u32_e32 v80, v35, v77
	s_waitcnt vmcnt(0)
	ds_store_b64 v78, v[1:2]
	ds_store_b64 v79, v[3:4] offset:2048
	v_and_b32_e32 v1, 0x1f8, v38
	v_lshrrev_b32_e32 v2, 2, v40
	v_lshrrev_b32_e32 v3, 2, v42
	;; [unrolled: 1-line block ×3, first 2 shown]
	v_add_nc_u32_e32 v81, v7, v77
	v_add_nc_u32_e32 v83, v1, v77
	v_and_b32_e32 v1, 0x1f8, v2
	v_lshrrev_b32_e32 v2, 2, v41
	v_and_b32_e32 v3, 0x3f8, v3
	v_and_b32_e32 v4, 0x3f8, v4
	v_add_nc_u32_e32 v82, v8, v77
	v_add_nc_u32_e32 v84, v1, v77
	v_and_b32_e32 v1, 0x1f8, v2
	v_lshrrev_b32_e32 v2, 2, v44
	v_add_nc_u32_e32 v86, v3, v77
	v_lshrrev_b32_e32 v3, 2, v47
	v_add_nc_u32_e32 v87, v4, v77
	v_add_nc_u32_e32 v85, v1, v77
	v_and_b32_e32 v1, 0x3f8, v2
	v_lshrrev_b32_e32 v2, 2, v45
	v_and_b32_e32 v3, 0x3f8, v3
	v_lshrrev_b32_e32 v4, 2, v48
	ds_store_b64 v80, v[5:6] offset:4096
	v_add_nc_u32_e32 v88, v1, v77
	v_and_b32_e32 v1, 0x3f8, v2
	v_lshrrev_b32_e32 v2, 2, v46
	v_add_nc_u32_e32 v91, v3, v77
	v_lshrrev_b32_e32 v3, 1, v0
	v_and_b32_e32 v4, 0x3f8, v4
	v_add_nc_u32_e32 v89, v1, v77
	v_and_b32_e32 v1, 0x3f8, v2
	v_lshrrev_b32_e32 v2, 2, v49
	ds_store_b64 v81, v[9:10] offset:6144
	ds_store_b64 v82, v[11:12] offset:8192
	v_add_nc_u32_e32 v92, v4, v77
	ds_store_b64 v83, v[13:14] offset:10240
	v_add_nc_u32_e32 v90, v1, v77
	v_and_b32_e32 v1, 0x3f8, v2
	v_lshlrev_b32_e32 v2, 4, v0
	ds_store_b64 v84, v[15:16] offset:12288
	ds_store_b64 v85, v[17:18] offset:14336
	;; [unrolled: 1-line block ×4, first 2 shown]
	v_add_nc_u32_e32 v93, v1, v77
	v_add_lshl_u32 v94, v3, v2, 3
	ds_store_b64 v88, v[23:24] offset:20480
	ds_store_b64 v89, v[25:26] offset:22528
	;; [unrolled: 1-line block ×6, first 2 shown]
	s_waitcnt lgkmcnt(0)
	s_barrier
	buffer_gl0_inv
	ds_load_2addr_b64 v[1:4], v94 offset1:1
	ds_load_2addr_b64 v[5:8], v94 offset0:2 offset1:3
	ds_load_2addr_b64 v[21:24], v94 offset0:4 offset1:5
	;; [unrolled: 1-line block ×4, first 2 shown]
	s_waitcnt lgkmcnt(4)
	v_mul_f32_e32 v95, v4, v1
	v_mul_f32_e32 v9, v4, v2
	s_delay_alu instid0(VALU_DEP_2) | instskip(NEXT) | instid1(VALU_DEP_2)
	v_fmac_f32_e32 v95, v3, v2
	v_fma_f32 v96, v3, v1, -v9
	s_waitcnt lgkmcnt(3)
	s_delay_alu instid0(VALU_DEP_2) | instskip(NEXT) | instid1(VALU_DEP_2)
	v_mul_f32_e32 v9, v6, v95
	v_mul_f32_e32 v50, v6, v96
	s_delay_alu instid0(VALU_DEP_2) | instskip(NEXT) | instid1(VALU_DEP_2)
	v_fma_f32 v49, v5, v96, -v9
	v_fmac_f32_e32 v50, v5, v95
	s_delay_alu instid0(VALU_DEP_2) | instskip(NEXT) | instid1(VALU_DEP_2)
	v_mul_f32_e32 v52, v8, v49
	v_mul_f32_e32 v9, v8, v50
	s_delay_alu instid0(VALU_DEP_2) | instskip(NEXT) | instid1(VALU_DEP_2)
	v_fmac_f32_e32 v52, v7, v50
	v_fma_f32 v51, v7, v49, -v9
	ds_load_2addr_b64 v[9:12], v94 offset0:6 offset1:7
	s_waitcnt lgkmcnt(3)
	v_mul_f32_e32 v13, v22, v52
	v_mul_f32_e32 v54, v22, v51
	s_delay_alu instid0(VALU_DEP_2) | instskip(NEXT) | instid1(VALU_DEP_2)
	v_fma_f32 v53, v21, v51, -v13
	v_fmac_f32_e32 v54, v21, v52
	s_delay_alu instid0(VALU_DEP_2) | instskip(NEXT) | instid1(VALU_DEP_2)
	v_mul_f32_e32 v56, v24, v53
	v_mul_f32_e32 v13, v24, v54
	s_delay_alu instid0(VALU_DEP_2) | instskip(NEXT) | instid1(VALU_DEP_2)
	v_fmac_f32_e32 v56, v23, v54
	v_fma_f32 v55, v23, v53, -v13
	s_waitcnt lgkmcnt(0)
	s_delay_alu instid0(VALU_DEP_2) | instskip(NEXT) | instid1(VALU_DEP_2)
	v_mul_f32_e32 v13, v10, v56
	v_mul_f32_e32 v58, v10, v55
	s_delay_alu instid0(VALU_DEP_2) | instskip(NEXT) | instid1(VALU_DEP_2)
	v_fma_f32 v57, v9, v55, -v13
	v_fmac_f32_e32 v58, v9, v56
	s_delay_alu instid0(VALU_DEP_2) | instskip(NEXT) | instid1(VALU_DEP_2)
	v_mul_f32_e32 v60, v12, v57
	v_mul_f32_e32 v13, v12, v58
	s_delay_alu instid0(VALU_DEP_2) | instskip(NEXT) | instid1(VALU_DEP_2)
	v_fmac_f32_e32 v60, v11, v58
	v_fma_f32 v59, v11, v57, -v13
	ds_load_2addr_b64 v[13:16], v94 offset0:10 offset1:11
	v_mul_f32_e32 v17, v26, v60
	v_mul_f32_e32 v62, v26, v59
	s_delay_alu instid0(VALU_DEP_2) | instskip(NEXT) | instid1(VALU_DEP_2)
	v_fma_f32 v61, v25, v59, -v17
	v_fmac_f32_e32 v62, v25, v60
	s_delay_alu instid0(VALU_DEP_2) | instskip(NEXT) | instid1(VALU_DEP_2)
	v_mul_f32_e32 v64, v28, v61
	v_mul_f32_e32 v17, v28, v62
	s_delay_alu instid0(VALU_DEP_2) | instskip(NEXT) | instid1(VALU_DEP_2)
	v_fmac_f32_e32 v64, v27, v62
	v_fma_f32 v63, v27, v61, -v17
	s_waitcnt lgkmcnt(0)
	s_delay_alu instid0(VALU_DEP_2) | instskip(NEXT) | instid1(VALU_DEP_2)
	v_mul_f32_e32 v17, v14, v64
	v_mul_f32_e32 v66, v14, v63
	s_delay_alu instid0(VALU_DEP_2) | instskip(NEXT) | instid1(VALU_DEP_2)
	v_fma_f32 v65, v13, v63, -v17
	v_fmac_f32_e32 v66, v13, v64
	s_delay_alu instid0(VALU_DEP_2) | instskip(NEXT) | instid1(VALU_DEP_1)
	v_mul_f32_e32 v68, v16, v65
	v_fmac_f32_e32 v68, v15, v66
	v_mul_f32_e32 v17, v16, v66
	s_delay_alu instid0(VALU_DEP_1)
	v_fma_f32 v67, v15, v65, -v17
	ds_load_2addr_b64 v[17:20], v94 offset0:14 offset1:15
	v_mul_f32_e32 v33, v30, v68
	s_waitcnt lgkmcnt(0)
	s_barrier
	v_mul_f32_e32 v70, v30, v67
	buffer_gl0_inv
	v_fma_f32 v69, v29, v67, -v33
	v_fmac_f32_e32 v70, v29, v68
	s_delay_alu instid0(VALU_DEP_2) | instskip(NEXT) | instid1(VALU_DEP_2)
	v_mul_f32_e32 v72, v32, v69
	v_mul_f32_e32 v33, v32, v70
	s_delay_alu instid0(VALU_DEP_2) | instskip(NEXT) | instid1(VALU_DEP_2)
	v_fmac_f32_e32 v72, v31, v70
	v_fma_f32 v71, v31, v69, -v33
	s_delay_alu instid0(VALU_DEP_2) | instskip(NEXT) | instid1(VALU_DEP_2)
	v_mul_f32_e32 v33, v18, v72
	v_mul_f32_e32 v74, v18, v71
	s_delay_alu instid0(VALU_DEP_2) | instskip(NEXT) | instid1(VALU_DEP_2)
	v_fma_f32 v73, v17, v71, -v33
	v_fmac_f32_e32 v74, v17, v72
	s_delay_alu instid0(VALU_DEP_2) | instskip(NEXT) | instid1(VALU_DEP_2)
	v_mul_f32_e32 v76, v20, v73
	v_mul_f32_e32 v33, v20, v74
	s_delay_alu instid0(VALU_DEP_2) | instskip(NEXT) | instid1(VALU_DEP_2)
	v_fmac_f32_e32 v76, v19, v74
	v_fma_f32 v75, v19, v73, -v33
	ds_store_b64 v78, v[75:76]
	s_waitcnt lgkmcnt(0)
	s_barrier
	buffer_gl0_inv
	v_cmpx_gt_u32_e32 32, v0
	s_cbranch_execz .LBB77_42
; %bb.33:
	v_lshlrev_b32_e32 v33, 1, v0
	s_mov_b32 s19, exec_lo
	s_delay_alu instid0(VALU_DEP_1) | instskip(NEXT) | instid1(VALU_DEP_1)
	v_and_b32_e32 v33, 0x1f8, v33
	v_lshl_or_b32 v97, v0, 6, v33
	ds_load_2addr_b64 v[45:48], v97 offset1:1
	ds_load_2addr_b64 v[41:44], v97 offset0:2 offset1:3
	s_waitcnt lgkmcnt(1)
	v_mul_f32_e32 v33, v46, v48
	s_delay_alu instid0(VALU_DEP_1) | instskip(SKIP_4) | instid1(VALU_DEP_2)
	v_fma_f32 v38, v45, v47, -v33
	ds_load_2addr_b64 v[33:36], v97 offset0:4 offset1:5
	v_mul_f32_e32 v37, v45, v48
	s_waitcnt lgkmcnt(1)
	v_mul_f32_e32 v39, v38, v42
	v_fmac_f32_e32 v37, v46, v47
	s_delay_alu instid0(VALU_DEP_1) | instskip(NEXT) | instid1(VALU_DEP_3)
	v_mul_f32_e32 v40, v37, v42
	v_fmac_f32_e32 v39, v41, v37
	s_delay_alu instid0(VALU_DEP_2) | instskip(NEXT) | instid1(VALU_DEP_2)
	v_fma_f32 v37, v41, v38, -v40
	v_mul_f32_e32 v38, v39, v44
	s_delay_alu instid0(VALU_DEP_2) | instskip(NEXT) | instid1(VALU_DEP_2)
	v_mul_f32_e32 v98, v37, v44
	v_fma_f32 v99, v43, v37, -v38
	s_delay_alu instid0(VALU_DEP_2) | instskip(SKIP_4) | instid1(VALU_DEP_2)
	v_fmac_f32_e32 v98, v43, v39
	ds_load_2addr_b64 v[37:40], v97 offset0:6 offset1:7
	s_waitcnt lgkmcnt(1)
	v_mul_f32_e32 v100, v99, v34
	v_mul_f32_e32 v101, v98, v34
	v_fmac_f32_e32 v100, v33, v98
	s_delay_alu instid0(VALU_DEP_2) | instskip(NEXT) | instid1(VALU_DEP_1)
	v_fma_f32 v98, v33, v99, -v101
	v_mul_f32_e32 v101, v98, v36
	s_delay_alu instid0(VALU_DEP_1) | instskip(SKIP_1) | instid1(VALU_DEP_1)
	v_fmac_f32_e32 v101, v35, v100
	v_mul_f32_e32 v99, v100, v36
	v_fma_f32 v98, v35, v98, -v99
	s_waitcnt lgkmcnt(0)
	s_delay_alu instid0(VALU_DEP_3) | instskip(NEXT) | instid1(VALU_DEP_2)
	v_mul_f32_e32 v99, v101, v38
	v_mul_f32_e32 v102, v98, v38
	s_delay_alu instid0(VALU_DEP_2) | instskip(SKIP_1) | instid1(VALU_DEP_3)
	v_fma_f32 v98, v37, v98, -v99
	v_mbcnt_lo_u32_b32 v99, -1, 0
	v_fmac_f32_e32 v102, v37, v101
	s_delay_alu instid0(VALU_DEP_3) | instskip(NEXT) | instid1(VALU_DEP_1)
	v_mul_f32_e32 v100, v98, v40
	v_dual_mul_f32 v101, v102, v40 :: v_dual_fmac_f32 v100, v39, v102
	s_delay_alu instid0(VALU_DEP_1) | instskip(SKIP_1) | instid1(VALU_DEP_3)
	v_fma_f32 v98, v39, v98, -v101
	v_and_b32_e32 v101, 15, v99
	v_mov_b32_dpp v103, v100 row_shr:1 row_mask:0xf bank_mask:0xf
	s_delay_alu instid0(VALU_DEP_3) | instskip(NEXT) | instid1(VALU_DEP_3)
	v_mov_b32_dpp v102, v98 row_shr:1 row_mask:0xf bank_mask:0xf
	v_cmpx_ne_u32_e32 0, v101
; %bb.34:
	s_delay_alu instid0(VALU_DEP_3) | instskip(SKIP_1) | instid1(VALU_DEP_2)
	v_mul_f32_e32 v104, v98, v103
	v_mul_f32_e32 v103, v100, v103
	v_fmac_f32_e32 v104, v100, v102
	s_delay_alu instid0(VALU_DEP_2) | instskip(NEXT) | instid1(VALU_DEP_2)
	v_fma_f32 v98, v98, v102, -v103
	v_mov_b32_e32 v100, v104
; %bb.35:
	s_or_b32 exec_lo, exec_lo, s19
	s_delay_alu instid0(VALU_DEP_2) | instskip(NEXT) | instid1(VALU_DEP_2)
	v_mov_b32_dpp v102, v98 row_shr:2 row_mask:0xf bank_mask:0xf
	v_mov_b32_dpp v103, v100 row_shr:2 row_mask:0xf bank_mask:0xf
	s_mov_b32 s19, exec_lo
	v_cmpx_lt_u32_e32 1, v101
; %bb.36:
	s_delay_alu instid0(VALU_DEP_2) | instskip(SKIP_1) | instid1(VALU_DEP_2)
	v_mul_f32_e32 v104, v98, v103
	v_mul_f32_e32 v103, v100, v103
	v_fmac_f32_e32 v104, v100, v102
	s_delay_alu instid0(VALU_DEP_2) | instskip(NEXT) | instid1(VALU_DEP_2)
	v_fma_f32 v98, v98, v102, -v103
	v_mov_b32_e32 v100, v104
; %bb.37:
	s_or_b32 exec_lo, exec_lo, s19
	s_delay_alu instid0(VALU_DEP_2) | instskip(NEXT) | instid1(VALU_DEP_2)
	v_mov_b32_dpp v102, v98 row_shr:4 row_mask:0xf bank_mask:0xf
	v_mov_b32_dpp v103, v100 row_shr:4 row_mask:0xf bank_mask:0xf
	s_mov_b32 s19, exec_lo
	v_cmpx_lt_u32_e32 3, v101
; %bb.38:
	s_delay_alu instid0(VALU_DEP_2) | instskip(SKIP_1) | instid1(VALU_DEP_2)
	v_mul_f32_e32 v104, v98, v103
	v_mul_f32_e32 v103, v100, v103
	v_fmac_f32_e32 v104, v100, v102
	s_delay_alu instid0(VALU_DEP_2) | instskip(NEXT) | instid1(VALU_DEP_2)
	v_fma_f32 v98, v98, v102, -v103
	v_mov_b32_e32 v100, v104
; %bb.39:
	s_or_b32 exec_lo, exec_lo, s19
	s_delay_alu instid0(VALU_DEP_2) | instskip(NEXT) | instid1(VALU_DEP_2)
	v_mov_b32_dpp v102, v98 row_shr:8 row_mask:0xf bank_mask:0xf
	v_mov_b32_dpp v103, v100 row_shr:8 row_mask:0xf bank_mask:0xf
	s_mov_b32 s19, exec_lo
	v_cmpx_lt_u32_e32 7, v101
; %bb.40:
	s_delay_alu instid0(VALU_DEP_2) | instskip(NEXT) | instid1(VALU_DEP_1)
	v_mul_f32_e32 v101, v98, v103
	v_fmac_f32_e32 v101, v100, v102
	s_delay_alu instid0(VALU_DEP_1) | instskip(NEXT) | instid1(VALU_DEP_1)
	v_dual_mul_f32 v103, v100, v103 :: v_dual_mov_b32 v100, v101
	v_fma_f32 v98, v98, v102, -v103
; %bb.41:
	s_or_b32 exec_lo, exec_lo, s19
	ds_swizzle_b32 v101, v100 offset:swizzle(BROADCAST,32,15)
	ds_swizzle_b32 v102, v98 offset:swizzle(BROADCAST,32,15)
	s_waitcnt lgkmcnt(1)
	v_dual_mul_f32 v104, v98, v101 :: v_dual_add_nc_u32 v103, -1, v99
	v_and_b32_e32 v105, 16, v99
	s_delay_alu instid0(VALU_DEP_2) | instskip(SKIP_3) | instid1(VALU_DEP_3)
	v_cmp_gt_i32_e64 s17, 0, v103
	v_mul_f32_e32 v101, v100, v101
	s_waitcnt lgkmcnt(0)
	v_fmac_f32_e32 v104, v100, v102
	v_cndmask_b32_e64 v99, v103, v99, s17
	v_cmp_eq_u32_e64 s17, 0, v105
	v_fma_f32 v101, v98, v102, -v101
	s_delay_alu instid0(VALU_DEP_3) | instskip(NEXT) | instid1(VALU_DEP_3)
	v_lshlrev_b32_e32 v99, 2, v99
	v_cndmask_b32_e64 v100, v104, v100, s17
	s_delay_alu instid0(VALU_DEP_3)
	v_cndmask_b32_e64 v98, v101, v98, s17
	v_cmp_eq_u32_e64 s17, 0, v0
	ds_bpermute_b32 v100, v99, v100
	ds_bpermute_b32 v98, v99, v98
	s_waitcnt lgkmcnt(1)
	v_mul_f32_e32 v99, v46, v100
	v_mul_f32_e32 v100, v45, v100
	s_waitcnt lgkmcnt(0)
	s_delay_alu instid0(VALU_DEP_2) | instskip(NEXT) | instid1(VALU_DEP_2)
	v_fma_f32 v45, v45, v98, -v99
	v_fmac_f32_e32 v100, v46, v98
	s_delay_alu instid0(VALU_DEP_2) | instskip(NEXT) | instid1(VALU_DEP_2)
	v_cndmask_b32_e64 v45, v45, v75, s17
	v_cndmask_b32_e64 v46, v100, v76, s17
	s_delay_alu instid0(VALU_DEP_1) | instskip(NEXT) | instid1(VALU_DEP_1)
	v_mul_f32_e32 v98, v48, v46
	v_fma_f32 v98, v47, v45, -v98
	s_delay_alu instid0(VALU_DEP_1) | instskip(NEXT) | instid1(VALU_DEP_1)
	v_dual_mul_f32 v99, v48, v45 :: v_dual_mul_f32 v48, v42, v98
	v_fmac_f32_e32 v99, v47, v46
	s_delay_alu instid0(VALU_DEP_1) | instskip(NEXT) | instid1(VALU_DEP_1)
	v_mul_f32_e32 v42, v42, v99
	v_fma_f32 v47, v41, v98, -v42
	s_delay_alu instid0(VALU_DEP_1) | instskip(SKIP_1) | instid1(VALU_DEP_1)
	v_mul_f32_e32 v42, v44, v47
	v_fmac_f32_e32 v48, v41, v99
	v_mul_f32_e32 v41, v44, v48
	s_delay_alu instid0(VALU_DEP_3) | instskip(NEXT) | instid1(VALU_DEP_2)
	v_fmac_f32_e32 v42, v43, v48
	v_fma_f32 v41, v43, v47, -v41
	s_delay_alu instid0(VALU_DEP_1) | instskip(NEXT) | instid1(VALU_DEP_3)
	v_mul_f32_e32 v44, v34, v41
	v_mul_f32_e32 v34, v34, v42
	s_delay_alu instid0(VALU_DEP_2) | instskip(NEXT) | instid1(VALU_DEP_2)
	v_fmac_f32_e32 v44, v33, v42
	v_fma_f32 v43, v33, v41, -v34
	s_delay_alu instid0(VALU_DEP_2) | instskip(NEXT) | instid1(VALU_DEP_2)
	v_mul_f32_e32 v33, v36, v44
	v_mul_f32_e32 v34, v36, v43
	s_delay_alu instid0(VALU_DEP_2) | instskip(NEXT) | instid1(VALU_DEP_2)
	v_fma_f32 v33, v35, v43, -v33
	v_fmac_f32_e32 v34, v35, v44
	s_delay_alu instid0(VALU_DEP_2) | instskip(NEXT) | instid1(VALU_DEP_2)
	v_mul_f32_e32 v36, v38, v33
	v_mul_f32_e32 v35, v38, v34
	s_delay_alu instid0(VALU_DEP_2) | instskip(NEXT) | instid1(VALU_DEP_2)
	v_fmac_f32_e32 v36, v37, v34
	v_fma_f32 v35, v37, v33, -v35
	s_delay_alu instid0(VALU_DEP_2) | instskip(NEXT) | instid1(VALU_DEP_2)
	v_mul_f32_e32 v37, v40, v36
	v_mul_f32_e32 v38, v40, v35
	s_delay_alu instid0(VALU_DEP_2) | instskip(NEXT) | instid1(VALU_DEP_2)
	v_fma_f32 v37, v39, v35, -v37
	v_fmac_f32_e32 v38, v39, v36
	ds_store_2addr_b64 v97, v[45:46], v[98:99] offset1:1
	ds_store_2addr_b64 v97, v[47:48], v[41:42] offset0:2 offset1:3
	ds_store_2addr_b64 v97, v[43:44], v[33:34] offset0:4 offset1:5
	;; [unrolled: 1-line block ×3, first 2 shown]
.LBB77_42:
	s_or_b32 exec_lo, exec_lo, s18
	v_cmp_ne_u32_e64 s17, 0, v0
	v_dual_mov_b32 v34, v76 :: v_dual_mov_b32 v33, v75
	s_waitcnt lgkmcnt(0)
	s_barrier
	buffer_gl0_inv
	s_and_saveexec_b32 s18, s17
	s_cbranch_execz .LBB77_44
; %bb.43:
	v_add_nc_u32_e32 v0, -1, v0
	s_delay_alu instid0(VALU_DEP_1) | instskip(NEXT) | instid1(VALU_DEP_1)
	v_lshrrev_b32_e32 v33, 5, v0
	v_add_lshl_u32 v0, v33, v0, 3
	ds_load_b64 v[33:34], v0
.LBB77_44:
	s_or_b32 exec_lo, exec_lo, s18
	s_and_saveexec_b32 s18, s17
	s_cbranch_execz .LBB77_46
; %bb.45:
	s_waitcnt lgkmcnt(0)
	v_mul_f32_e32 v0, v34, v2
	s_delay_alu instid0(VALU_DEP_1) | instskip(SKIP_1) | instid1(VALU_DEP_1)
	v_fma_f32 v0, v33, v1, -v0
	v_mul_f32_e32 v2, v33, v2
	v_fmac_f32_e32 v2, v34, v1
	s_delay_alu instid0(VALU_DEP_1) | instskip(SKIP_1) | instid1(VALU_DEP_2)
	v_mul_f32_e32 v1, v4, v2
	v_mul_f32_e32 v95, v3, v2
	v_fma_f32 v96, v3, v0, -v1
	s_delay_alu instid0(VALU_DEP_2) | instskip(NEXT) | instid1(VALU_DEP_2)
	v_fmac_f32_e32 v95, v4, v0
	v_mul_f32_e32 v50, v6, v96
	s_delay_alu instid0(VALU_DEP_1) | instskip(NEXT) | instid1(VALU_DEP_1)
	v_fmac_f32_e32 v50, v5, v95
	v_dual_mul_f32 v1, v6, v95 :: v_dual_mul_f32 v52, v7, v50
	s_delay_alu instid0(VALU_DEP_1) | instskip(SKIP_1) | instid1(VALU_DEP_2)
	v_fma_f32 v49, v5, v96, -v1
	v_mul_f32_e32 v1, v8, v50
	v_fmac_f32_e32 v52, v8, v49
	s_delay_alu instid0(VALU_DEP_2) | instskip(NEXT) | instid1(VALU_DEP_2)
	v_fma_f32 v51, v7, v49, -v1
	v_mul_f32_e32 v54, v21, v52
	v_mul_f32_e32 v1, v22, v52
	s_delay_alu instid0(VALU_DEP_2) | instskip(NEXT) | instid1(VALU_DEP_2)
	v_fmac_f32_e32 v54, v22, v51
	v_fma_f32 v53, v21, v51, -v1
	s_delay_alu instid0(VALU_DEP_2) | instskip(NEXT) | instid1(VALU_DEP_1)
	v_mul_f32_e32 v56, v23, v54
	v_fmac_f32_e32 v56, v24, v53
	s_delay_alu instid0(VALU_DEP_1) | instskip(NEXT) | instid1(VALU_DEP_1)
	v_dual_mul_f32 v1, v24, v54 :: v_dual_mul_f32 v58, v9, v56
	v_fma_f32 v55, v23, v53, -v1
	s_delay_alu instid0(VALU_DEP_1) | instskip(NEXT) | instid1(VALU_DEP_1)
	v_fmac_f32_e32 v58, v10, v55
	v_dual_mul_f32 v1, v10, v56 :: v_dual_mul_f32 v60, v11, v58
	s_delay_alu instid0(VALU_DEP_1) | instskip(SKIP_1) | instid1(VALU_DEP_2)
	v_fma_f32 v57, v9, v55, -v1
	v_mul_f32_e32 v1, v12, v58
	v_fmac_f32_e32 v60, v12, v57
	s_delay_alu instid0(VALU_DEP_2) | instskip(NEXT) | instid1(VALU_DEP_2)
	v_fma_f32 v59, v11, v57, -v1
	v_mul_f32_e32 v62, v25, v60
	v_mul_f32_e32 v1, v26, v60
	s_delay_alu instid0(VALU_DEP_2) | instskip(NEXT) | instid1(VALU_DEP_2)
	v_fmac_f32_e32 v62, v26, v59
	v_fma_f32 v61, v25, v59, -v1
	s_delay_alu instid0(VALU_DEP_2) | instskip(SKIP_1) | instid1(VALU_DEP_2)
	v_mul_f32_e32 v64, v27, v62
	v_mul_f32_e32 v1, v28, v62
	v_fmac_f32_e32 v64, v28, v61
	s_delay_alu instid0(VALU_DEP_2) | instskip(NEXT) | instid1(VALU_DEP_2)
	v_fma_f32 v63, v27, v61, -v1
	v_mul_f32_e32 v66, v13, v64
	v_mul_f32_e32 v1, v14, v64
	s_delay_alu instid0(VALU_DEP_2) | instskip(NEXT) | instid1(VALU_DEP_2)
	v_fmac_f32_e32 v66, v14, v63
	v_fma_f32 v65, v13, v63, -v1
	s_delay_alu instid0(VALU_DEP_2) | instskip(SKIP_1) | instid1(VALU_DEP_2)
	v_mul_f32_e32 v68, v15, v66
	;; [unrolled: 11-line block ×4, first 2 shown]
	v_mul_f32_e32 v76, v19, v74
	v_fma_f32 v75, v19, v73, -v1
	v_mov_b32_e32 v1, v0
	s_delay_alu instid0(VALU_DEP_3)
	v_fmac_f32_e32 v76, v20, v73
.LBB77_46:
	s_or_b32 exec_lo, exec_lo, s18
	v_dual_mov_b32 v3, v96 :: v_dual_mov_b32 v4, v95
	s_waitcnt lgkmcnt(0)
	s_barrier
	buffer_gl0_inv
	ds_store_2addr_b64 v94, v[1:2], v[3:4] offset1:1
	ds_store_2addr_b64 v94, v[49:50], v[51:52] offset0:2 offset1:3
	ds_store_2addr_b64 v94, v[53:54], v[55:56] offset0:4 offset1:5
	;; [unrolled: 1-line block ×7, first 2 shown]
	s_waitcnt lgkmcnt(0)
	s_barrier
	buffer_gl0_inv
	ds_load_b64 v[30:31], v79 offset:2048
	ds_load_b64 v[28:29], v80 offset:4096
	;; [unrolled: 1-line block ×15, first 2 shown]
	s_load_b64 s[0:1], s[0:1], 0x18
	s_waitcnt lgkmcnt(0)
	v_add_co_u32 v2, s0, s0, v77
	s_delay_alu instid0(VALU_DEP_1)
	v_add_co_ci_u32_e64 v3, null, s1, 0, s0
	s_and_saveexec_b32 s0, vcc_lo
	s_cbranch_execnz .LBB77_63
; %bb.47:
	s_or_b32 exec_lo, exec_lo, s0
	s_and_saveexec_b32 s0, s2
	s_cbranch_execnz .LBB77_64
.LBB77_48:
	s_or_b32 exec_lo, exec_lo, s0
	s_and_saveexec_b32 s0, s3
	s_cbranch_execnz .LBB77_65
.LBB77_49:
	s_or_b32 exec_lo, exec_lo, s0
	s_and_saveexec_b32 s0, s4
	s_cbranch_execnz .LBB77_66
.LBB77_50:
	s_or_b32 exec_lo, exec_lo, s0
	s_and_saveexec_b32 s0, s5
	s_cbranch_execnz .LBB77_67
.LBB77_51:
	s_or_b32 exec_lo, exec_lo, s0
	s_and_saveexec_b32 s0, s6
	s_cbranch_execnz .LBB77_68
.LBB77_52:
	s_or_b32 exec_lo, exec_lo, s0
	s_and_saveexec_b32 s0, s7
	s_cbranch_execnz .LBB77_69
.LBB77_53:
	s_or_b32 exec_lo, exec_lo, s0
	s_and_saveexec_b32 s0, s8
	s_cbranch_execnz .LBB77_70
.LBB77_54:
	s_or_b32 exec_lo, exec_lo, s0
	s_and_saveexec_b32 s0, s9
	s_cbranch_execnz .LBB77_71
.LBB77_55:
	s_or_b32 exec_lo, exec_lo, s0
	s_and_saveexec_b32 s0, s10
	s_cbranch_execnz .LBB77_72
.LBB77_56:
	s_or_b32 exec_lo, exec_lo, s0
	s_and_saveexec_b32 s0, s11
	s_cbranch_execnz .LBB77_73
.LBB77_57:
	s_or_b32 exec_lo, exec_lo, s0
	s_and_saveexec_b32 s0, s12
	s_cbranch_execnz .LBB77_74
.LBB77_58:
	s_or_b32 exec_lo, exec_lo, s0
	s_and_saveexec_b32 s0, s13
	s_cbranch_execnz .LBB77_75
.LBB77_59:
	s_or_b32 exec_lo, exec_lo, s0
	s_and_saveexec_b32 s0, s14
	s_cbranch_execnz .LBB77_76
.LBB77_60:
	s_or_b32 exec_lo, exec_lo, s0
	s_and_saveexec_b32 s0, s15
	s_cbranch_execnz .LBB77_77
.LBB77_61:
	s_or_b32 exec_lo, exec_lo, s0
	s_and_saveexec_b32 s0, s16
	s_cbranch_execnz .LBB77_78
.LBB77_62:
	s_nop 0
	s_sendmsg sendmsg(MSG_DEALLOC_VGPRS)
	s_endpgm
.LBB77_63:
	ds_load_b64 v[32:33], v78
	s_waitcnt lgkmcnt(0)
	global_store_b64 v[2:3], v[32:33], off
	s_or_b32 exec_lo, exec_lo, s0
	s_and_saveexec_b32 s0, s2
	s_cbranch_execz .LBB77_48
.LBB77_64:
	global_store_b64 v[2:3], v[30:31], off offset:2048
	s_or_b32 exec_lo, exec_lo, s0
	s_and_saveexec_b32 s0, s3
	s_cbranch_execz .LBB77_49
.LBB77_65:
	v_add_co_u32 v30, vcc_lo, 0x1000, v2
	v_add_co_ci_u32_e32 v31, vcc_lo, 0, v3, vcc_lo
	global_store_b64 v[30:31], v[28:29], off
	s_or_b32 exec_lo, exec_lo, s0
	s_and_saveexec_b32 s0, s4
	s_cbranch_execz .LBB77_50
.LBB77_66:
	v_add_co_u32 v28, vcc_lo, 0x1000, v2
	v_add_co_ci_u32_e32 v29, vcc_lo, 0, v3, vcc_lo
	global_store_b64 v[28:29], v[26:27], off offset:2048
	s_or_b32 exec_lo, exec_lo, s0
	s_and_saveexec_b32 s0, s5
	s_cbranch_execz .LBB77_51
.LBB77_67:
	v_add_co_u32 v26, vcc_lo, 0x2000, v2
	v_add_co_ci_u32_e32 v27, vcc_lo, 0, v3, vcc_lo
	global_store_b64 v[26:27], v[24:25], off
	s_or_b32 exec_lo, exec_lo, s0
	s_and_saveexec_b32 s0, s6
	s_cbranch_execz .LBB77_52
.LBB77_68:
	v_add_co_u32 v24, vcc_lo, 0x2000, v2
	v_add_co_ci_u32_e32 v25, vcc_lo, 0, v3, vcc_lo
	global_store_b64 v[24:25], v[22:23], off offset:2048
	s_or_b32 exec_lo, exec_lo, s0
	s_and_saveexec_b32 s0, s7
	s_cbranch_execz .LBB77_53
.LBB77_69:
	v_add_co_u32 v22, vcc_lo, 0x3000, v2
	v_add_co_ci_u32_e32 v23, vcc_lo, 0, v3, vcc_lo
	global_store_b64 v[22:23], v[20:21], off
	s_or_b32 exec_lo, exec_lo, s0
	s_and_saveexec_b32 s0, s8
	s_cbranch_execz .LBB77_54
.LBB77_70:
	v_add_co_u32 v20, vcc_lo, 0x3000, v2
	v_add_co_ci_u32_e32 v21, vcc_lo, 0, v3, vcc_lo
	global_store_b64 v[20:21], v[18:19], off offset:2048
	s_or_b32 exec_lo, exec_lo, s0
	s_and_saveexec_b32 s0, s9
	s_cbranch_execz .LBB77_55
.LBB77_71:
	v_add_co_u32 v18, vcc_lo, 0x4000, v2
	v_add_co_ci_u32_e32 v19, vcc_lo, 0, v3, vcc_lo
	global_store_b64 v[18:19], v[16:17], off
	s_or_b32 exec_lo, exec_lo, s0
	s_and_saveexec_b32 s0, s10
	s_cbranch_execz .LBB77_56
.LBB77_72:
	v_add_co_u32 v16, vcc_lo, 0x4000, v2
	v_add_co_ci_u32_e32 v17, vcc_lo, 0, v3, vcc_lo
	global_store_b64 v[16:17], v[14:15], off offset:2048
	s_or_b32 exec_lo, exec_lo, s0
	s_and_saveexec_b32 s0, s11
	s_cbranch_execz .LBB77_57
.LBB77_73:
	v_add_co_u32 v14, vcc_lo, 0x5000, v2
	v_add_co_ci_u32_e32 v15, vcc_lo, 0, v3, vcc_lo
	global_store_b64 v[14:15], v[12:13], off
	s_or_b32 exec_lo, exec_lo, s0
	s_and_saveexec_b32 s0, s12
	s_cbranch_execz .LBB77_58
.LBB77_74:
	v_add_co_u32 v12, vcc_lo, 0x5000, v2
	v_add_co_ci_u32_e32 v13, vcc_lo, 0, v3, vcc_lo
	global_store_b64 v[12:13], v[10:11], off offset:2048
	s_or_b32 exec_lo, exec_lo, s0
	s_and_saveexec_b32 s0, s13
	s_cbranch_execz .LBB77_59
.LBB77_75:
	v_add_co_u32 v10, vcc_lo, 0x6000, v2
	v_add_co_ci_u32_e32 v11, vcc_lo, 0, v3, vcc_lo
	global_store_b64 v[10:11], v[8:9], off
	s_or_b32 exec_lo, exec_lo, s0
	s_and_saveexec_b32 s0, s14
	s_cbranch_execz .LBB77_60
.LBB77_76:
	v_add_co_u32 v8, vcc_lo, 0x6000, v2
	v_add_co_ci_u32_e32 v9, vcc_lo, 0, v3, vcc_lo
	global_store_b64 v[8:9], v[6:7], off offset:2048
	s_or_b32 exec_lo, exec_lo, s0
	s_and_saveexec_b32 s0, s15
	s_cbranch_execz .LBB77_61
.LBB77_77:
	v_add_co_u32 v6, vcc_lo, 0x7000, v2
	v_add_co_ci_u32_e32 v7, vcc_lo, 0, v3, vcc_lo
	global_store_b64 v[6:7], v[4:5], off
	s_or_b32 exec_lo, exec_lo, s0
	s_and_saveexec_b32 s0, s16
	s_cbranch_execz .LBB77_62
.LBB77_78:
	v_add_co_u32 v2, vcc_lo, 0x7000, v2
	v_add_co_ci_u32_e32 v3, vcc_lo, 0, v3, vcc_lo
	global_store_b64 v[2:3], v[0:1], off offset:2048
	s_nop 0
	s_sendmsg sendmsg(MSG_DEALLOC_VGPRS)
	s_endpgm
	.section	.rodata,"a",@progbits
	.p2align	6, 0x0
	.amdhsa_kernel _ZN7rocprim17ROCPRIM_304000_NS6detail18single_scan_kernelILb0ENS1_19wrapped_scan_configINS0_14default_configEN3c107complexIfEEEEPKS7_PS7_St10multipliesIS7_ES7_S7_EEvT1_mT4_T2_T3_
		.amdhsa_group_segment_fixed_size 33792
		.amdhsa_private_segment_fixed_size 0
		.amdhsa_kernarg_size 36
		.amdhsa_user_sgpr_count 15
		.amdhsa_user_sgpr_dispatch_ptr 0
		.amdhsa_user_sgpr_queue_ptr 0
		.amdhsa_user_sgpr_kernarg_segment_ptr 1
		.amdhsa_user_sgpr_dispatch_id 0
		.amdhsa_user_sgpr_private_segment_size 0
		.amdhsa_wavefront_size32 1
		.amdhsa_uses_dynamic_stack 0
		.amdhsa_enable_private_segment 0
		.amdhsa_system_sgpr_workgroup_id_x 1
		.amdhsa_system_sgpr_workgroup_id_y 0
		.amdhsa_system_sgpr_workgroup_id_z 0
		.amdhsa_system_sgpr_workgroup_info 0
		.amdhsa_system_vgpr_workitem_id 0
		.amdhsa_next_free_vgpr 106
		.amdhsa_next_free_sgpr 22
		.amdhsa_reserve_vcc 1
		.amdhsa_float_round_mode_32 0
		.amdhsa_float_round_mode_16_64 0
		.amdhsa_float_denorm_mode_32 3
		.amdhsa_float_denorm_mode_16_64 3
		.amdhsa_dx10_clamp 1
		.amdhsa_ieee_mode 1
		.amdhsa_fp16_overflow 0
		.amdhsa_workgroup_processor_mode 1
		.amdhsa_memory_ordered 1
		.amdhsa_forward_progress 0
		.amdhsa_shared_vgpr_count 0
		.amdhsa_exception_fp_ieee_invalid_op 0
		.amdhsa_exception_fp_denorm_src 0
		.amdhsa_exception_fp_ieee_div_zero 0
		.amdhsa_exception_fp_ieee_overflow 0
		.amdhsa_exception_fp_ieee_underflow 0
		.amdhsa_exception_fp_ieee_inexact 0
		.amdhsa_exception_int_div_zero 0
	.end_amdhsa_kernel
	.section	.text._ZN7rocprim17ROCPRIM_304000_NS6detail18single_scan_kernelILb0ENS1_19wrapped_scan_configINS0_14default_configEN3c107complexIfEEEEPKS7_PS7_St10multipliesIS7_ES7_S7_EEvT1_mT4_T2_T3_,"axG",@progbits,_ZN7rocprim17ROCPRIM_304000_NS6detail18single_scan_kernelILb0ENS1_19wrapped_scan_configINS0_14default_configEN3c107complexIfEEEEPKS7_PS7_St10multipliesIS7_ES7_S7_EEvT1_mT4_T2_T3_,comdat
.Lfunc_end77:
	.size	_ZN7rocprim17ROCPRIM_304000_NS6detail18single_scan_kernelILb0ENS1_19wrapped_scan_configINS0_14default_configEN3c107complexIfEEEEPKS7_PS7_St10multipliesIS7_ES7_S7_EEvT1_mT4_T2_T3_, .Lfunc_end77-_ZN7rocprim17ROCPRIM_304000_NS6detail18single_scan_kernelILb0ENS1_19wrapped_scan_configINS0_14default_configEN3c107complexIfEEEEPKS7_PS7_St10multipliesIS7_ES7_S7_EEvT1_mT4_T2_T3_
                                        ; -- End function
	.section	.AMDGPU.csdata,"",@progbits
; Kernel info:
; codeLenInByte = 4544
; NumSgprs: 24
; NumVgprs: 106
; ScratchSize: 0
; MemoryBound: 0
; FloatMode: 240
; IeeeMode: 1
; LDSByteSize: 33792 bytes/workgroup (compile time only)
; SGPRBlocks: 2
; VGPRBlocks: 13
; NumSGPRsForWavesPerEU: 24
; NumVGPRsForWavesPerEU: 106
; Occupancy: 6
; WaveLimiterHint : 0
; COMPUTE_PGM_RSRC2:SCRATCH_EN: 0
; COMPUTE_PGM_RSRC2:USER_SGPR: 15
; COMPUTE_PGM_RSRC2:TRAP_HANDLER: 0
; COMPUTE_PGM_RSRC2:TGID_X_EN: 1
; COMPUTE_PGM_RSRC2:TGID_Y_EN: 0
; COMPUTE_PGM_RSRC2:TGID_Z_EN: 0
; COMPUTE_PGM_RSRC2:TIDIG_COMP_CNT: 0
	.section	.text._ZN2at6native32tensor_kernel_scan_innermost_dimIN3c107complexIfEESt10multipliesIS4_EEEvPT_PKS7_jjjS7_T0_,"axG",@progbits,_ZN2at6native32tensor_kernel_scan_innermost_dimIN3c107complexIfEESt10multipliesIS4_EEEvPT_PKS7_jjjS7_T0_,comdat
	.protected	_ZN2at6native32tensor_kernel_scan_innermost_dimIN3c107complexIfEESt10multipliesIS4_EEEvPT_PKS7_jjjS7_T0_ ; -- Begin function _ZN2at6native32tensor_kernel_scan_innermost_dimIN3c107complexIfEESt10multipliesIS4_EEEvPT_PKS7_jjjS7_T0_
	.globl	_ZN2at6native32tensor_kernel_scan_innermost_dimIN3c107complexIfEESt10multipliesIS4_EEEvPT_PKS7_jjjS7_T0_
	.p2align	8
	.type	_ZN2at6native32tensor_kernel_scan_innermost_dimIN3c107complexIfEESt10multipliesIS4_EEEvPT_PKS7_jjjS7_T0_,@function
_ZN2at6native32tensor_kernel_scan_innermost_dimIN3c107complexIfEESt10multipliesIS4_EEEvPT_PKS7_jjjS7_T0_: ; @_ZN2at6native32tensor_kernel_scan_innermost_dimIN3c107complexIfEESt10multipliesIS4_EEEvPT_PKS7_jjjS7_T0_
; %bb.0:
	s_clause 0x1
	s_load_b256 s[16:23], s[0:1], 0x0
	s_load_b64 s[6:7], s[0:1], 0x20
	v_bfe_u32 v9, v0, 10, 10
	s_waitcnt lgkmcnt(0)
	s_lshl_b32 s5, 2, s22
	s_mul_hi_u32 s2, s20, s21
	s_delay_alu instid0(VALU_DEP_1) | instskip(SKIP_3) | instid1(VALU_DEP_1)
	v_mul_lo_u32 v1, s5, v9
	s_mov_b32 s8, s20
	s_cmp_lg_u32 s2, 0
	s_mov_b32 s2, -1
	v_lshl_add_u32 v10, v1, 3, 0
	s_cbranch_scc1 .LBB78_30
; %bb.1:
	s_load_b32 s4, s[0:1], 0x3c
	s_add_u32 s2, s0, 48
	s_addc_u32 s3, s1, 0
	s_waitcnt lgkmcnt(0)
	s_lshr_b32 s4, s4, 16
	s_delay_alu instid0(SALU_CYCLE_1) | instskip(NEXT) | instid1(SALU_CYCLE_1)
	s_mul_i32 s9, s15, s4
	s_cmp_ge_u32 s9, s20
	s_cbranch_scc1 .LBB78_29
; %bb.2:
	s_load_b32 s12, s[2:3], 0x0
	v_dual_mov_b32 v2, 0 :: v_dual_and_b32 v7, 0x3ff, v0
	s_lshl_b32 s10, 1, s22
	s_cmp_lg_u32 s21, 0
	s_delay_alu instid0(VALU_DEP_1)
	v_lshl_add_u32 v8, v7, 3, v10
	s_cselect_b32 s11, -1, 0
	s_lshl_b32 s3, s5, 3
	v_cmp_eq_u32_e64 s2, 0, v7
	v_add3_u32 v11, v10, s3, -8
	v_lshl_add_u32 v12, s10, 3, v8
	s_add_i32 s13, s22, 1
	s_waitcnt lgkmcnt(0)
	s_mul_i32 s12, s12, s4
	s_branch .LBB78_4
.LBB78_3:                               ;   in Loop: Header=BB78_4 Depth=1
	s_add_i32 s9, s9, s12
	s_delay_alu instid0(SALU_CYCLE_1)
	s_cmp_ge_u32 s9, s20
	s_cbranch_scc1 .LBB78_29
.LBB78_4:                               ; =>This Loop Header: Depth=1
                                        ;     Child Loop BB78_7 Depth 2
                                        ;       Child Loop BB78_18 Depth 3
	s_and_not1_b32 vcc_lo, exec_lo, s11
	s_cbranch_vccnz .LBB78_3
; %bb.5:                                ;   in Loop: Header=BB78_4 Depth=1
	v_dual_mov_b32 v6, s7 :: v_dual_add_nc_u32 v5, s9, v9
	s_mov_b32 s14, 0
	s_delay_alu instid0(VALU_DEP_1) | instskip(SKIP_3) | instid1(VALU_DEP_4)
	v_mul_lo_u32 v1, v5, s21
	v_cmp_gt_u32_e32 vcc_lo, s20, v5
	v_cmp_le_u32_e64 s3, s20, v5
	v_mov_b32_e32 v5, s6
	v_lshlrev_b64 v[3:4], 3, v[1:2]
	s_delay_alu instid0(VALU_DEP_1) | instskip(NEXT) | instid1(VALU_DEP_1)
	v_add_co_u32 v13, s4, s18, v3
	v_add_co_ci_u32_e64 v14, s4, s19, v4, s4
	v_add_co_u32 v15, s4, s16, v3
	s_delay_alu instid0(VALU_DEP_1)
	v_add_co_ci_u32_e64 v16, s4, s17, v4, s4
	s_branch .LBB78_7
.LBB78_6:                               ;   in Loop: Header=BB78_7 Depth=2
	s_or_b32 exec_lo, exec_lo, s23
	ds_load_b64 v[5:6], v11
	s_add_i32 s14, s14, s5
	s_waitcnt lgkmcnt(0)
	s_waitcnt_vscnt null, 0x0
	s_cmp_ge_u32 s14, s21
	s_barrier
	buffer_gl0_inv
	s_cbranch_scc1 .LBB78_3
.LBB78_7:                               ;   Parent Loop BB78_4 Depth=1
                                        ; =>  This Loop Header: Depth=2
                                        ;       Child Loop BB78_18 Depth 3
	v_add_nc_u32_e32 v1, s14, v7
	s_delay_alu instid0(VALU_DEP_1)
	v_add_nc_u32_e32 v3, s10, v1
	s_and_saveexec_b32 s23, vcc_lo
	s_cbranch_execz .LBB78_16
; %bb.8:                                ;   in Loop: Header=BB78_7 Depth=2
	v_cmp_le_u32_e64 s4, s21, v1
	s_delay_alu instid0(VALU_DEP_1) | instskip(NEXT) | instid1(SALU_CYCLE_1)
	s_and_saveexec_b32 s24, s4
	s_xor_b32 s4, exec_lo, s24
	s_cbranch_execz .LBB78_10
; %bb.9:                                ;   in Loop: Header=BB78_7 Depth=2
	v_dual_mov_b32 v17, s6 :: v_dual_mov_b32 v18, s7
	ds_store_b64 v8, v[17:18]
.LBB78_10:                              ;   in Loop: Header=BB78_7 Depth=2
	s_and_not1_saveexec_b32 s24, s4
	s_cbranch_execz .LBB78_12
; %bb.11:                               ;   in Loop: Header=BB78_7 Depth=2
	v_lshlrev_b64 v[17:18], 3, v[1:2]
	s_delay_alu instid0(VALU_DEP_1) | instskip(NEXT) | instid1(VALU_DEP_1)
	v_add_co_u32 v17, s4, v13, v17
	v_add_co_ci_u32_e64 v18, s4, v14, v18, s4
	global_load_b64 v[17:18], v[17:18], off
	s_waitcnt vmcnt(0)
	ds_store_b64 v8, v[17:18]
.LBB78_12:                              ;   in Loop: Header=BB78_7 Depth=2
	s_or_b32 exec_lo, exec_lo, s24
	v_cmp_le_u32_e64 s4, s21, v3
	s_delay_alu instid0(VALU_DEP_1) | instskip(NEXT) | instid1(SALU_CYCLE_1)
	s_and_saveexec_b32 s24, s4
	s_xor_b32 s4, exec_lo, s24
	s_cbranch_execnz .LBB78_27
; %bb.13:                               ;   in Loop: Header=BB78_7 Depth=2
	s_and_not1_saveexec_b32 s24, s4
	s_cbranch_execnz .LBB78_28
.LBB78_14:                              ;   in Loop: Header=BB78_7 Depth=2
	s_or_b32 exec_lo, exec_lo, s24
	s_delay_alu instid0(SALU_CYCLE_1)
	s_and_b32 exec_lo, exec_lo, s2
	s_cbranch_execz .LBB78_16
.LBB78_15:                              ;   in Loop: Header=BB78_7 Depth=2
	ds_load_b64 v[17:18], v10
	s_waitcnt lgkmcnt(0)
	v_mul_f32_e32 v4, v6, v18
	v_mul_f32_e32 v19, v5, v18
	s_delay_alu instid0(VALU_DEP_2) | instskip(NEXT) | instid1(VALU_DEP_2)
	v_fma_f32 v18, v5, v17, -v4
	v_fmac_f32_e32 v19, v6, v17
	ds_store_b64 v10, v[18:19]
.LBB78_16:                              ;   in Loop: Header=BB78_7 Depth=2
	s_or_b32 exec_lo, exec_lo, s23
	v_mov_b32_e32 v4, 0
	s_mov_b32 s23, 0
	s_waitcnt lgkmcnt(0)
	s_barrier
	buffer_gl0_inv
	s_set_inst_prefetch_distance 0x1
	s_branch .LBB78_18
	.p2align	6
.LBB78_17:                              ;   in Loop: Header=BB78_18 Depth=3
	s_or_b32 exec_lo, exec_lo, s4
	s_delay_alu instid0(VALU_DEP_1) | instskip(SKIP_4) | instid1(SALU_CYCLE_1)
	v_cmp_eq_u32_e64 s4, s13, v4
	s_waitcnt lgkmcnt(0)
	s_barrier
	buffer_gl0_inv
	s_or_b32 s23, s4, s23
	s_and_not1_b32 exec_lo, exec_lo, s23
	s_cbranch_execz .LBB78_22
.LBB78_18:                              ;   Parent Loop BB78_4 Depth=1
                                        ;     Parent Loop BB78_7 Depth=2
                                        ; =>    This Inner Loop Header: Depth=3
	v_add_nc_u32_e32 v5, 1, v4
	s_and_saveexec_b32 s4, s3
	s_delay_alu instid0(SALU_CYCLE_1)
	s_xor_b32 s4, exec_lo, s4
; %bb.19:                               ;   in Loop: Header=BB78_18 Depth=3
	v_add_nc_u32_e32 v4, 1, v4
                                        ; implicit-def: $vgpr5
; %bb.20:                               ;   in Loop: Header=BB78_18 Depth=3
	s_and_not1_saveexec_b32 s4, s4
	s_cbranch_execz .LBB78_17
; %bb.21:                               ;   in Loop: Header=BB78_18 Depth=3
	s_delay_alu instid0(VALU_DEP_1) | instskip(SKIP_2) | instid1(VALU_DEP_2)
	v_lshlrev_b32_e64 v6, v4, 1
	v_lshrrev_b32_e32 v17, v4, v7
	v_bfm_b32 v4, v4, 0
	v_lshl_or_b32 v6, v17, v5, v6
	s_delay_alu instid0(VALU_DEP_2) | instskip(NEXT) | instid1(VALU_DEP_2)
	v_and_b32_e32 v4, v4, v7
	v_lshl_add_u32 v6, v6, 3, v10
	s_delay_alu instid0(VALU_DEP_1)
	v_lshl_add_u32 v23, v4, 3, v6
	v_add_nc_u32_e32 v4, -8, v6
	ds_load_b64 v[17:18], v23
	ds_load_b64 v[19:20], v4
	s_waitcnt lgkmcnt(0)
	v_mul_f32_e32 v4, v20, v18
	v_mul_f32_e32 v22, v19, v18
	s_delay_alu instid0(VALU_DEP_2) | instskip(NEXT) | instid1(VALU_DEP_2)
	v_fma_f32 v21, v19, v17, -v4
	v_fmac_f32_e32 v22, v20, v17
	v_mov_b32_e32 v4, v5
	ds_store_b64 v23, v[21:22]
	s_branch .LBB78_17
.LBB78_22:                              ;   in Loop: Header=BB78_7 Depth=2
	s_set_inst_prefetch_distance 0x2
	s_or_b32 exec_lo, exec_lo, s23
	s_and_saveexec_b32 s23, vcc_lo
	s_cbranch_execz .LBB78_6
; %bb.23:                               ;   in Loop: Header=BB78_7 Depth=2
	s_mov_b32 s24, exec_lo
	v_cmpx_gt_u32_e64 s21, v1
	s_cbranch_execz .LBB78_25
; %bb.24:                               ;   in Loop: Header=BB78_7 Depth=2
	ds_load_b64 v[4:5], v8
	v_lshlrev_b64 v[17:18], 3, v[1:2]
	s_delay_alu instid0(VALU_DEP_1) | instskip(NEXT) | instid1(VALU_DEP_1)
	v_add_co_u32 v17, s4, v15, v17
	v_add_co_ci_u32_e64 v18, s4, v16, v18, s4
	s_waitcnt lgkmcnt(0)
	global_store_b64 v[17:18], v[4:5], off
.LBB78_25:                              ;   in Loop: Header=BB78_7 Depth=2
	s_or_b32 exec_lo, exec_lo, s24
	v_cmp_gt_u32_e64 s4, s21, v3
	s_delay_alu instid0(VALU_DEP_1)
	s_and_b32 exec_lo, exec_lo, s4
	s_cbranch_execz .LBB78_6
; %bb.26:                               ;   in Loop: Header=BB78_7 Depth=2
	ds_load_b64 v[5:6], v12
	v_mov_b32_e32 v4, v2
	s_delay_alu instid0(VALU_DEP_1) | instskip(NEXT) | instid1(VALU_DEP_1)
	v_lshlrev_b64 v[3:4], 3, v[3:4]
	v_add_co_u32 v3, s4, v15, v3
	s_delay_alu instid0(VALU_DEP_1)
	v_add_co_ci_u32_e64 v4, s4, v16, v4, s4
	s_waitcnt lgkmcnt(0)
	global_store_b64 v[3:4], v[5:6], off
	s_branch .LBB78_6
.LBB78_27:                              ;   in Loop: Header=BB78_7 Depth=2
	v_dual_mov_b32 v17, s6 :: v_dual_mov_b32 v18, s7
	ds_store_b64 v12, v[17:18]
	s_and_not1_saveexec_b32 s24, s4
	s_cbranch_execz .LBB78_14
.LBB78_28:                              ;   in Loop: Header=BB78_7 Depth=2
	v_mov_b32_e32 v4, v2
	s_delay_alu instid0(VALU_DEP_1) | instskip(NEXT) | instid1(VALU_DEP_1)
	v_lshlrev_b64 v[17:18], 3, v[3:4]
	v_add_co_u32 v17, s4, v13, v17
	s_delay_alu instid0(VALU_DEP_1) | instskip(SKIP_4) | instid1(SALU_CYCLE_1)
	v_add_co_ci_u32_e64 v18, s4, v14, v18, s4
	global_load_b64 v[17:18], v[17:18], off
	s_waitcnt vmcnt(0)
	ds_store_b64 v12, v[17:18]
	s_or_b32 exec_lo, exec_lo, s24
	s_and_b32 exec_lo, exec_lo, s2
	s_cbranch_execnz .LBB78_15
	s_branch .LBB78_16
.LBB78_29:
	s_mov_b32 s2, 0
.LBB78_30:
	s_delay_alu instid0(SALU_CYCLE_1)
	s_and_not1_b32 vcc_lo, exec_lo, s2
	s_cbranch_vccnz .LBB78_61
; %bb.31:
	s_load_b32 s2, s[0:1], 0x3c
	s_add_u32 s0, s0, 48
	s_addc_u32 s1, s1, 0
	s_mov_b32 s9, 0
	s_waitcnt lgkmcnt(0)
	s_lshr_b32 s2, s2, 16
	s_delay_alu instid0(SALU_CYCLE_1) | instskip(SKIP_1) | instid1(SALU_CYCLE_1)
	s_mul_hi_u32 s5, s2, s15
	s_mul_i32 s4, s2, s15
	v_cmp_ge_u64_e64 s3, s[4:5], s[8:9]
	s_delay_alu instid0(VALU_DEP_1)
	s_and_b32 vcc_lo, exec_lo, s3
	s_cbranch_vccnz .LBB78_61
; %bb.32:
	s_load_b32 s1, s[0:1], 0x0
	v_dual_mov_b32 v1, 0 :: v_dual_and_b32 v0, 0x3ff, v0
	s_lshl_b32 s10, 1, s22
	s_and_b32 s2, 0xffff, s2
	s_ashr_i32 s11, s10, 31
	s_cmp_lg_u32 s21, 0
	v_lshl_add_u32 v11, v0, 3, v10
	s_cselect_b32 s3, -1, 0
	s_lshl_b64 s[14:15], s[10:11], 1
	v_cmp_eq_u32_e64 s0, 0, v0
	s_lshl_b32 s13, s14, 3
	v_lshl_add_u32 v13, s10, 3, v11
	v_add3_u32 v12, v10, s13, -8
	s_mov_b32 s12, s21
	s_mov_b32 s13, s9
	s_add_i32 s22, s22, 1
	s_waitcnt lgkmcnt(0)
	s_mul_i32 s23, s1, s2
	s_branch .LBB78_34
.LBB78_33:                              ;   in Loop: Header=BB78_34 Depth=1
	s_add_u32 s4, s4, s23
	s_addc_u32 s5, s5, 0
	s_delay_alu instid0(SALU_CYCLE_1) | instskip(NEXT) | instid1(VALU_DEP_1)
	v_cmp_ge_u64_e64 s1, s[4:5], s[8:9]
	s_and_b32 vcc_lo, exec_lo, s1
	s_cbranch_vccnz .LBB78_61
.LBB78_34:                              ; =>This Loop Header: Depth=1
                                        ;     Child Loop BB78_37 Depth 2
                                        ;       Child Loop BB78_49 Depth 3
	s_and_not1_b32 vcc_lo, exec_lo, s3
	s_cbranch_vccnz .LBB78_33
; %bb.35:                               ;   in Loop: Header=BB78_34 Depth=1
	v_add_co_u32 v2, s1, s4, v9
	s_delay_alu instid0(VALU_DEP_1) | instskip(SKIP_1) | instid1(VALU_DEP_2)
	v_add_co_ci_u32_e64 v3, null, s5, 0, s1
	s_mov_b64 s[20:21], 0
	v_mad_u64_u32 v[4:5], null, v2, s12, 0
	s_delay_alu instid0(VALU_DEP_2) | instskip(SKIP_1) | instid1(VALU_DEP_3)
	v_cmp_gt_u64_e64 s1, s[8:9], v[2:3]
	v_cmp_le_u64_e64 s2, s[8:9], v[2:3]
	v_mad_u64_u32 v[6:7], null, v3, s12, v[5:6]
	v_mov_b32_e32 v7, s7
	s_delay_alu instid0(VALU_DEP_2) | instskip(NEXT) | instid1(VALU_DEP_1)
	v_dual_mov_b32 v5, v6 :: v_dual_mov_b32 v6, s6
	v_lshlrev_b64 v[4:5], 3, v[4:5]
	s_delay_alu instid0(VALU_DEP_1) | instskip(NEXT) | instid1(VALU_DEP_2)
	v_add_co_u32 v14, vcc_lo, s18, v4
	v_add_co_ci_u32_e32 v15, vcc_lo, s19, v5, vcc_lo
	v_add_co_u32 v16, vcc_lo, s16, v4
	v_add_co_ci_u32_e32 v17, vcc_lo, s17, v5, vcc_lo
	s_branch .LBB78_37
.LBB78_36:                              ;   in Loop: Header=BB78_37 Depth=2
	s_or_b32 exec_lo, exec_lo, s24
	ds_load_b64 v[6:7], v12
	s_add_u32 s20, s20, s14
	s_addc_u32 s21, s21, s15
	s_waitcnt lgkmcnt(0)
	s_waitcnt_vscnt null, 0x0
	v_cmp_ge_u64_e64 s24, s[20:21], s[12:13]
	s_barrier
	buffer_gl0_inv
	s_and_b32 vcc_lo, exec_lo, s24
	s_cbranch_vccnz .LBB78_33
.LBB78_37:                              ;   Parent Loop BB78_34 Depth=1
                                        ; =>  This Loop Header: Depth=2
                                        ;       Child Loop BB78_49 Depth 3
	v_add_co_u32 v4, s24, s20, v0
	s_delay_alu instid0(VALU_DEP_1) | instskip(NEXT) | instid1(VALU_DEP_2)
	v_add_co_ci_u32_e64 v5, null, s21, 0, s24
	v_add_co_u32 v2, vcc_lo, v4, s10
	s_delay_alu instid0(VALU_DEP_2)
	v_add_co_ci_u32_e32 v3, vcc_lo, s11, v5, vcc_lo
	s_and_saveexec_b32 s24, s1
	s_cbranch_execz .LBB78_46
; %bb.38:                               ;   in Loop: Header=BB78_37 Depth=2
	s_mov_b32 s25, exec_lo
	v_cmpx_le_u64_e64 s[12:13], v[4:5]
	s_xor_b32 s25, exec_lo, s25
	s_cbranch_execz .LBB78_40
; %bb.39:                               ;   in Loop: Header=BB78_37 Depth=2
	v_dual_mov_b32 v18, s6 :: v_dual_mov_b32 v19, s7
	ds_store_b64 v11, v[18:19]
.LBB78_40:                              ;   in Loop: Header=BB78_37 Depth=2
	s_and_not1_saveexec_b32 s25, s25
	s_cbranch_execz .LBB78_42
; %bb.41:                               ;   in Loop: Header=BB78_37 Depth=2
	v_lshlrev_b64 v[18:19], 3, v[4:5]
	s_delay_alu instid0(VALU_DEP_1) | instskip(NEXT) | instid1(VALU_DEP_2)
	v_add_co_u32 v18, vcc_lo, v14, v18
	v_add_co_ci_u32_e32 v19, vcc_lo, v15, v19, vcc_lo
	global_load_b64 v[18:19], v[18:19], off
	s_waitcnt vmcnt(0)
	ds_store_b64 v11, v[18:19]
.LBB78_42:                              ;   in Loop: Header=BB78_37 Depth=2
	s_or_b32 exec_lo, exec_lo, s25
	s_delay_alu instid0(SALU_CYCLE_1)
	s_mov_b32 s25, exec_lo
	v_cmpx_le_u64_e64 s[12:13], v[2:3]
	s_xor_b32 s25, exec_lo, s25
	s_cbranch_execnz .LBB78_59
; %bb.43:                               ;   in Loop: Header=BB78_37 Depth=2
	s_and_not1_saveexec_b32 s25, s25
	s_cbranch_execnz .LBB78_60
.LBB78_44:                              ;   in Loop: Header=BB78_37 Depth=2
	s_or_b32 exec_lo, exec_lo, s25
	s_delay_alu instid0(SALU_CYCLE_1)
	s_and_b32 exec_lo, exec_lo, s0
	s_cbranch_execz .LBB78_46
.LBB78_45:                              ;   in Loop: Header=BB78_37 Depth=2
	ds_load_b64 v[18:19], v10
	s_waitcnt lgkmcnt(0)
	v_mul_f32_e32 v8, v7, v19
	v_mul_f32_e32 v20, v6, v19
	s_delay_alu instid0(VALU_DEP_2) | instskip(NEXT) | instid1(VALU_DEP_2)
	v_fma_f32 v19, v6, v18, -v8
	v_fmac_f32_e32 v20, v7, v18
	ds_store_b64 v10, v[19:20]
.LBB78_46:                              ;   in Loop: Header=BB78_37 Depth=2
	s_or_b32 exec_lo, exec_lo, s24
	v_mov_b32_e32 v19, 0
	s_mov_b32 s24, 0
	s_waitcnt lgkmcnt(0)
	s_barrier
	buffer_gl0_inv
	s_branch .LBB78_49
.LBB78_47:                              ;   in Loop: Header=BB78_49 Depth=3
	s_or_b32 exec_lo, exec_lo, s26
	v_lshrrev_b32_e32 v8, v19, v0
	s_delay_alu instid0(VALU_DEP_1) | instskip(NEXT) | instid1(VALU_DEP_1)
	v_lshl_or_b32 v6, v8, v18, v6
	v_lshl_add_u32 v6, v6, 3, v10
	s_delay_alu instid0(VALU_DEP_1)
	v_lshl_add_u32 v21, v7, 3, v6
	v_add_nc_u32_e32 v8, -8, v6
	ds_load_b64 v[6:7], v21
	ds_load_b64 v[19:20], v8
	s_waitcnt lgkmcnt(0)
	v_mul_f32_e32 v22, v20, v7
	v_mul_f32_e32 v8, v19, v7
	s_delay_alu instid0(VALU_DEP_2) | instskip(NEXT) | instid1(VALU_DEP_2)
	v_fma_f32 v7, v19, v6, -v22
	v_fmac_f32_e32 v8, v20, v6
	ds_store_b64 v21, v[7:8]
.LBB78_48:                              ;   in Loop: Header=BB78_49 Depth=3
	s_or_b32 exec_lo, exec_lo, s25
	s_delay_alu instid0(VALU_DEP_1)
	v_cmp_eq_u32_e32 vcc_lo, s22, v18
	v_mov_b32_e32 v19, v18
	s_waitcnt lgkmcnt(0)
	s_barrier
	buffer_gl0_inv
	s_or_b32 s24, vcc_lo, s24
	s_delay_alu instid0(SALU_CYCLE_1)
	s_and_not1_b32 exec_lo, exec_lo, s24
	s_cbranch_execz .LBB78_54
.LBB78_49:                              ;   Parent Loop BB78_34 Depth=1
                                        ;     Parent Loop BB78_37 Depth=2
                                        ; =>    This Inner Loop Header: Depth=3
	v_add_nc_u32_e32 v18, 1, v19
	s_and_saveexec_b32 s25, s2
	s_delay_alu instid0(SALU_CYCLE_1)
	s_xor_b32 s25, exec_lo, s25
; %bb.50:                               ;   in Loop: Header=BB78_49 Depth=3
	v_add_nc_u32_e32 v18, 1, v19
                                        ; implicit-def: $vgpr19
; %bb.51:                               ;   in Loop: Header=BB78_49 Depth=3
	s_and_not1_saveexec_b32 s25, s25
	s_cbranch_execz .LBB78_48
; %bb.52:                               ;   in Loop: Header=BB78_49 Depth=3
	v_lshlrev_b32_e64 v6, v19, 1
	s_delay_alu instid0(VALU_DEP_1) | instskip(NEXT) | instid1(VALU_DEP_1)
	v_ashrrev_i32_e32 v7, 31, v6
	v_cmp_ge_u64_e32 vcc_lo, v[0:1], v[6:7]
	v_dual_mov_b32 v8, v1 :: v_dual_mov_b32 v7, v0
	s_and_saveexec_b32 s26, vcc_lo
	s_cbranch_execz .LBB78_47
; %bb.53:                               ;   in Loop: Header=BB78_49 Depth=3
	v_cvt_f32_u32_e32 v7, v6
	v_sub_nc_u32_e32 v8, 0, v6
	s_delay_alu instid0(VALU_DEP_2) | instskip(SKIP_2) | instid1(VALU_DEP_1)
	v_rcp_iflag_f32_e32 v7, v7
	s_waitcnt_depctr 0xfff
	v_mul_f32_e32 v7, 0x4f7ffffe, v7
	v_cvt_u32_f32_e32 v7, v7
	s_delay_alu instid0(VALU_DEP_1) | instskip(NEXT) | instid1(VALU_DEP_1)
	v_mul_lo_u32 v8, v8, v7
	v_mul_hi_u32 v8, v7, v8
	s_delay_alu instid0(VALU_DEP_1) | instskip(NEXT) | instid1(VALU_DEP_1)
	v_add_nc_u32_e32 v7, v7, v8
	v_mul_hi_u32 v7, v0, v7
	s_delay_alu instid0(VALU_DEP_1) | instskip(NEXT) | instid1(VALU_DEP_1)
	v_mul_lo_u32 v7, v7, v6
	v_sub_nc_u32_e32 v7, v0, v7
	s_delay_alu instid0(VALU_DEP_1) | instskip(SKIP_1) | instid1(VALU_DEP_2)
	v_sub_nc_u32_e32 v8, v7, v6
	v_cmp_ge_u32_e32 vcc_lo, v7, v6
	v_cndmask_b32_e32 v7, v7, v8, vcc_lo
	s_delay_alu instid0(VALU_DEP_1) | instskip(SKIP_1) | instid1(VALU_DEP_2)
	v_sub_nc_u32_e32 v8, v7, v6
	v_cmp_ge_u32_e32 vcc_lo, v7, v6
	v_cndmask_b32_e32 v7, v7, v8, vcc_lo
	s_branch .LBB78_47
.LBB78_54:                              ;   in Loop: Header=BB78_37 Depth=2
	s_or_b32 exec_lo, exec_lo, s24
	s_and_saveexec_b32 s24, s1
	s_cbranch_execz .LBB78_36
; %bb.55:                               ;   in Loop: Header=BB78_37 Depth=2
	s_mov_b32 s25, exec_lo
	v_cmpx_gt_u64_e64 s[12:13], v[4:5]
	s_cbranch_execz .LBB78_57
; %bb.56:                               ;   in Loop: Header=BB78_37 Depth=2
	ds_load_b64 v[6:7], v11
	v_lshlrev_b64 v[4:5], 3, v[4:5]
	s_delay_alu instid0(VALU_DEP_1) | instskip(NEXT) | instid1(VALU_DEP_2)
	v_add_co_u32 v4, vcc_lo, v16, v4
	v_add_co_ci_u32_e32 v5, vcc_lo, v17, v5, vcc_lo
	s_waitcnt lgkmcnt(0)
	global_store_b64 v[4:5], v[6:7], off
.LBB78_57:                              ;   in Loop: Header=BB78_37 Depth=2
	s_or_b32 exec_lo, exec_lo, s25
	v_cmp_gt_u64_e32 vcc_lo, s[12:13], v[2:3]
	s_and_b32 exec_lo, exec_lo, vcc_lo
	s_cbranch_execz .LBB78_36
; %bb.58:                               ;   in Loop: Header=BB78_37 Depth=2
	ds_load_b64 v[4:5], v13
	v_lshlrev_b64 v[2:3], 3, v[2:3]
	s_delay_alu instid0(VALU_DEP_1) | instskip(NEXT) | instid1(VALU_DEP_2)
	v_add_co_u32 v2, vcc_lo, v16, v2
	v_add_co_ci_u32_e32 v3, vcc_lo, v17, v3, vcc_lo
	s_waitcnt lgkmcnt(0)
	global_store_b64 v[2:3], v[4:5], off
	s_branch .LBB78_36
.LBB78_59:                              ;   in Loop: Header=BB78_37 Depth=2
	v_dual_mov_b32 v18, s6 :: v_dual_mov_b32 v19, s7
	ds_store_b64 v13, v[18:19]
	s_and_not1_saveexec_b32 s25, s25
	s_cbranch_execz .LBB78_44
.LBB78_60:                              ;   in Loop: Header=BB78_37 Depth=2
	v_lshlrev_b64 v[18:19], 3, v[2:3]
	s_delay_alu instid0(VALU_DEP_1) | instskip(NEXT) | instid1(VALU_DEP_2)
	v_add_co_u32 v18, vcc_lo, v14, v18
	v_add_co_ci_u32_e32 v19, vcc_lo, v15, v19, vcc_lo
	global_load_b64 v[18:19], v[18:19], off
	s_waitcnt vmcnt(0)
	ds_store_b64 v13, v[18:19]
	s_or_b32 exec_lo, exec_lo, s25
	s_delay_alu instid0(SALU_CYCLE_1)
	s_and_b32 exec_lo, exec_lo, s0
	s_cbranch_execnz .LBB78_45
	s_branch .LBB78_46
.LBB78_61:
	s_endpgm
	.section	.rodata,"a",@progbits
	.p2align	6, 0x0
	.amdhsa_kernel _ZN2at6native32tensor_kernel_scan_innermost_dimIN3c107complexIfEESt10multipliesIS4_EEEvPT_PKS7_jjjS7_T0_
		.amdhsa_group_segment_fixed_size 0
		.amdhsa_private_segment_fixed_size 0
		.amdhsa_kernarg_size 304
		.amdhsa_user_sgpr_count 15
		.amdhsa_user_sgpr_dispatch_ptr 0
		.amdhsa_user_sgpr_queue_ptr 0
		.amdhsa_user_sgpr_kernarg_segment_ptr 1
		.amdhsa_user_sgpr_dispatch_id 0
		.amdhsa_user_sgpr_private_segment_size 0
		.amdhsa_wavefront_size32 1
		.amdhsa_uses_dynamic_stack 0
		.amdhsa_enable_private_segment 0
		.amdhsa_system_sgpr_workgroup_id_x 1
		.amdhsa_system_sgpr_workgroup_id_y 0
		.amdhsa_system_sgpr_workgroup_id_z 0
		.amdhsa_system_sgpr_workgroup_info 0
		.amdhsa_system_vgpr_workitem_id 1
		.amdhsa_next_free_vgpr 24
		.amdhsa_next_free_sgpr 27
		.amdhsa_reserve_vcc 1
		.amdhsa_float_round_mode_32 0
		.amdhsa_float_round_mode_16_64 0
		.amdhsa_float_denorm_mode_32 3
		.amdhsa_float_denorm_mode_16_64 3
		.amdhsa_dx10_clamp 1
		.amdhsa_ieee_mode 1
		.amdhsa_fp16_overflow 0
		.amdhsa_workgroup_processor_mode 1
		.amdhsa_memory_ordered 1
		.amdhsa_forward_progress 0
		.amdhsa_shared_vgpr_count 0
		.amdhsa_exception_fp_ieee_invalid_op 0
		.amdhsa_exception_fp_denorm_src 0
		.amdhsa_exception_fp_ieee_div_zero 0
		.amdhsa_exception_fp_ieee_overflow 0
		.amdhsa_exception_fp_ieee_underflow 0
		.amdhsa_exception_fp_ieee_inexact 0
		.amdhsa_exception_int_div_zero 0
	.end_amdhsa_kernel
	.section	.text._ZN2at6native32tensor_kernel_scan_innermost_dimIN3c107complexIfEESt10multipliesIS4_EEEvPT_PKS7_jjjS7_T0_,"axG",@progbits,_ZN2at6native32tensor_kernel_scan_innermost_dimIN3c107complexIfEESt10multipliesIS4_EEEvPT_PKS7_jjjS7_T0_,comdat
.Lfunc_end78:
	.size	_ZN2at6native32tensor_kernel_scan_innermost_dimIN3c107complexIfEESt10multipliesIS4_EEEvPT_PKS7_jjjS7_T0_, .Lfunc_end78-_ZN2at6native32tensor_kernel_scan_innermost_dimIN3c107complexIfEESt10multipliesIS4_EEEvPT_PKS7_jjjS7_T0_
                                        ; -- End function
	.section	.AMDGPU.csdata,"",@progbits
; Kernel info:
; codeLenInByte = 2276
; NumSgprs: 29
; NumVgprs: 24
; ScratchSize: 0
; MemoryBound: 0
; FloatMode: 240
; IeeeMode: 1
; LDSByteSize: 0 bytes/workgroup (compile time only)
; SGPRBlocks: 3
; VGPRBlocks: 2
; NumSGPRsForWavesPerEU: 29
; NumVGPRsForWavesPerEU: 24
; Occupancy: 16
; WaveLimiterHint : 0
; COMPUTE_PGM_RSRC2:SCRATCH_EN: 0
; COMPUTE_PGM_RSRC2:USER_SGPR: 15
; COMPUTE_PGM_RSRC2:TRAP_HANDLER: 0
; COMPUTE_PGM_RSRC2:TGID_X_EN: 1
; COMPUTE_PGM_RSRC2:TGID_Y_EN: 0
; COMPUTE_PGM_RSRC2:TGID_Z_EN: 0
; COMPUTE_PGM_RSRC2:TIDIG_COMP_CNT: 1
	.section	.text._ZN2at6native28tensor_kernel_scan_outer_dimIN3c107complexIfEEjSt10multipliesIS4_EEEvPT_PKS7_jjjS7_T1_,"axG",@progbits,_ZN2at6native28tensor_kernel_scan_outer_dimIN3c107complexIfEEjSt10multipliesIS4_EEEvPT_PKS7_jjjS7_T1_,comdat
	.protected	_ZN2at6native28tensor_kernel_scan_outer_dimIN3c107complexIfEEjSt10multipliesIS4_EEEvPT_PKS7_jjjS7_T1_ ; -- Begin function _ZN2at6native28tensor_kernel_scan_outer_dimIN3c107complexIfEEjSt10multipliesIS4_EEEvPT_PKS7_jjjS7_T1_
	.globl	_ZN2at6native28tensor_kernel_scan_outer_dimIN3c107complexIfEEjSt10multipliesIS4_EEEvPT_PKS7_jjjS7_T1_
	.p2align	8
	.type	_ZN2at6native28tensor_kernel_scan_outer_dimIN3c107complexIfEEjSt10multipliesIS4_EEEvPT_PKS7_jjjS7_T1_,@function
_ZN2at6native28tensor_kernel_scan_outer_dimIN3c107complexIfEEjSt10multipliesIS4_EEEvPT_PKS7_jjjS7_T1_: ; @_ZN2at6native28tensor_kernel_scan_outer_dimIN3c107complexIfEEjSt10multipliesIS4_EEEvPT_PKS7_jjjS7_T1_
; %bb.0:
	s_load_b128 s[4:7], s[0:1], 0x10
	s_waitcnt lgkmcnt(0)
	s_cmp_ge_u32 s14, s4
	s_cbranch_scc1 .LBB79_9
; %bb.1:
	s_clause 0x3
	s_load_b32 s16, s[0:1], 0x3c
	s_load_b32 s7, s[0:1], 0x30
	s_load_b128 s[8:11], s[0:1], 0x0
	s_load_b64 s[2:3], s[0:1], 0x20
	s_add_u32 s12, s0, 48
	s_addc_u32 s13, s1, 0
	s_mul_i32 s0, s14, s6
	v_mov_b32_e32 v3, 0
	s_mul_i32 s20, s0, s5
	s_mov_b32 s17, 0
	s_waitcnt lgkmcnt(0)
	s_and_b32 s1, s16, 0xffff
	s_mov_b32 s16, s5
	v_mad_u64_u32 v[1:2], null, s15, s1, v[0:1]
	s_cmp_lg_u32 s6, 0
	s_mul_i32 s22, s7, s6
	s_cselect_b32 s15, -1, 0
	s_mul_i32 s22, s22, s5
	s_lshl_b64 s[18:19], s[16:17], 3
	s_mov_b32 s16, s20
	s_delay_alu instid0(VALU_DEP_1)
	v_cmp_gt_u32_e64 s0, s5, v1
	s_branch .LBB79_3
.LBB79_2:                               ;   in Loop: Header=BB79_3 Depth=1
	s_set_inst_prefetch_distance 0x2
	s_or_b32 exec_lo, exec_lo, s23
	s_add_i32 s14, s7, s14
	s_add_i32 s16, s16, s22
	s_cmp_ge_u32 s14, s4
	s_cbranch_scc1 .LBB79_9
.LBB79_3:                               ; =>This Loop Header: Depth=1
                                        ;     Child Loop BB79_6 Depth 2
                                        ;       Child Loop BB79_8 Depth 3
	s_delay_alu instid0(VALU_DEP_1)
	s_and_saveexec_b32 s23, s0
	s_cbranch_execz .LBB79_2
; %bb.4:                                ;   in Loop: Header=BB79_3 Depth=1
	s_load_b32 s24, s[12:13], 0x4
	v_mov_b32_e32 v2, v1
	s_lshl_b64 s[20:21], s[16:17], 3
	s_mov_b32 s25, 0
	s_waitcnt lgkmcnt(0)
	s_mul_i32 s24, s24, s1
	s_set_inst_prefetch_distance 0x1
	s_branch .LBB79_6
	.p2align	6
.LBB79_5:                               ;   in Loop: Header=BB79_6 Depth=2
	v_add_nc_u32_e32 v2, s24, v2
	s_delay_alu instid0(VALU_DEP_1) | instskip(SKIP_1) | instid1(SALU_CYCLE_1)
	v_cmp_le_u32_e32 vcc_lo, s5, v2
	s_or_b32 s25, vcc_lo, s25
	s_and_not1_b32 exec_lo, exec_lo, s25
	s_cbranch_execz .LBB79_2
.LBB79_6:                               ;   Parent Loop BB79_3 Depth=1
                                        ; =>  This Loop Header: Depth=2
                                        ;       Child Loop BB79_8 Depth 3
	s_and_not1_b32 vcc_lo, exec_lo, s15
	s_cbranch_vccnz .LBB79_5
; %bb.7:                                ;   in Loop: Header=BB79_6 Depth=2
	v_lshlrev_b64 v[6:7], 3, v[2:3]
	v_mov_b32_e32 v5, s3
	s_mov_b32 s26, s6
	s_delay_alu instid0(VALU_DEP_2) | instskip(SKIP_1) | instid1(VALU_DEP_4)
	v_add_co_u32 v0, vcc_lo, s20, v6
	v_mov_b32_e32 v6, s2
	v_add_co_ci_u32_e32 v4, vcc_lo, s21, v7, vcc_lo
	.p2align	6
.LBB79_8:                               ;   Parent Loop BB79_3 Depth=1
                                        ;     Parent Loop BB79_6 Depth=2
                                        ; =>    This Inner Loop Header: Depth=3
	s_delay_alu instid0(VALU_DEP_3) | instskip(NEXT) | instid1(VALU_DEP_2)
	v_add_co_u32 v7, vcc_lo, s10, v0
	v_add_co_ci_u32_e32 v8, vcc_lo, s11, v4, vcc_lo
	v_add_co_u32 v9, vcc_lo, s8, v0
	v_add_co_ci_u32_e32 v10, vcc_lo, s9, v4, vcc_lo
	global_load_b64 v[7:8], v[7:8], off
	v_add_co_u32 v0, vcc_lo, v0, s18
	v_add_co_ci_u32_e32 v4, vcc_lo, s19, v4, vcc_lo
	s_add_i32 s26, s26, -1
	s_delay_alu instid0(SALU_CYCLE_1) | instskip(SKIP_3) | instid1(VALU_DEP_2)
	s_cmp_eq_u32 s26, 0
	s_waitcnt vmcnt(0)
	v_mul_f32_e32 v11, v8, v5
	v_mul_f32_e32 v12, v8, v6
	v_fma_f32 v11, v7, v6, -v11
	s_delay_alu instid0(VALU_DEP_2) | instskip(NEXT) | instid1(VALU_DEP_1)
	v_fmac_f32_e32 v12, v7, v5
	v_dual_mov_b32 v6, v11 :: v_dual_mov_b32 v5, v12
	global_store_b64 v[9:10], v[11:12], off
	s_cbranch_scc0 .LBB79_8
	s_branch .LBB79_5
.LBB79_9:
	s_nop 0
	s_sendmsg sendmsg(MSG_DEALLOC_VGPRS)
	s_endpgm
	.section	.rodata,"a",@progbits
	.p2align	6, 0x0
	.amdhsa_kernel _ZN2at6native28tensor_kernel_scan_outer_dimIN3c107complexIfEEjSt10multipliesIS4_EEEvPT_PKS7_jjjS7_T1_
		.amdhsa_group_segment_fixed_size 0
		.amdhsa_private_segment_fixed_size 0
		.amdhsa_kernarg_size 304
		.amdhsa_user_sgpr_count 14
		.amdhsa_user_sgpr_dispatch_ptr 0
		.amdhsa_user_sgpr_queue_ptr 0
		.amdhsa_user_sgpr_kernarg_segment_ptr 1
		.amdhsa_user_sgpr_dispatch_id 0
		.amdhsa_user_sgpr_private_segment_size 0
		.amdhsa_wavefront_size32 1
		.amdhsa_uses_dynamic_stack 0
		.amdhsa_enable_private_segment 0
		.amdhsa_system_sgpr_workgroup_id_x 1
		.amdhsa_system_sgpr_workgroup_id_y 1
		.amdhsa_system_sgpr_workgroup_id_z 0
		.amdhsa_system_sgpr_workgroup_info 0
		.amdhsa_system_vgpr_workitem_id 0
		.amdhsa_next_free_vgpr 13
		.amdhsa_next_free_sgpr 27
		.amdhsa_reserve_vcc 1
		.amdhsa_float_round_mode_32 0
		.amdhsa_float_round_mode_16_64 0
		.amdhsa_float_denorm_mode_32 3
		.amdhsa_float_denorm_mode_16_64 3
		.amdhsa_dx10_clamp 1
		.amdhsa_ieee_mode 1
		.amdhsa_fp16_overflow 0
		.amdhsa_workgroup_processor_mode 1
		.amdhsa_memory_ordered 1
		.amdhsa_forward_progress 0
		.amdhsa_shared_vgpr_count 0
		.amdhsa_exception_fp_ieee_invalid_op 0
		.amdhsa_exception_fp_denorm_src 0
		.amdhsa_exception_fp_ieee_div_zero 0
		.amdhsa_exception_fp_ieee_overflow 0
		.amdhsa_exception_fp_ieee_underflow 0
		.amdhsa_exception_fp_ieee_inexact 0
		.amdhsa_exception_int_div_zero 0
	.end_amdhsa_kernel
	.section	.text._ZN2at6native28tensor_kernel_scan_outer_dimIN3c107complexIfEEjSt10multipliesIS4_EEEvPT_PKS7_jjjS7_T1_,"axG",@progbits,_ZN2at6native28tensor_kernel_scan_outer_dimIN3c107complexIfEEjSt10multipliesIS4_EEEvPT_PKS7_jjjS7_T1_,comdat
.Lfunc_end79:
	.size	_ZN2at6native28tensor_kernel_scan_outer_dimIN3c107complexIfEEjSt10multipliesIS4_EEEvPT_PKS7_jjjS7_T1_, .Lfunc_end79-_ZN2at6native28tensor_kernel_scan_outer_dimIN3c107complexIfEEjSt10multipliesIS4_EEEvPT_PKS7_jjjS7_T1_
                                        ; -- End function
	.section	.AMDGPU.csdata,"",@progbits
; Kernel info:
; codeLenInByte = 408
; NumSgprs: 29
; NumVgprs: 13
; ScratchSize: 0
; MemoryBound: 0
; FloatMode: 240
; IeeeMode: 1
; LDSByteSize: 0 bytes/workgroup (compile time only)
; SGPRBlocks: 3
; VGPRBlocks: 1
; NumSGPRsForWavesPerEU: 29
; NumVGPRsForWavesPerEU: 13
; Occupancy: 16
; WaveLimiterHint : 0
; COMPUTE_PGM_RSRC2:SCRATCH_EN: 0
; COMPUTE_PGM_RSRC2:USER_SGPR: 14
; COMPUTE_PGM_RSRC2:TRAP_HANDLER: 0
; COMPUTE_PGM_RSRC2:TGID_X_EN: 1
; COMPUTE_PGM_RSRC2:TGID_Y_EN: 1
; COMPUTE_PGM_RSRC2:TGID_Z_EN: 0
; COMPUTE_PGM_RSRC2:TIDIG_COMP_CNT: 0
	.section	.text._ZN2at6native28tensor_kernel_scan_outer_dimIN3c107complexIfEEmSt10multipliesIS4_EEEvPT_PKS7_jjjS7_T1_,"axG",@progbits,_ZN2at6native28tensor_kernel_scan_outer_dimIN3c107complexIfEEmSt10multipliesIS4_EEEvPT_PKS7_jjjS7_T1_,comdat
	.protected	_ZN2at6native28tensor_kernel_scan_outer_dimIN3c107complexIfEEmSt10multipliesIS4_EEEvPT_PKS7_jjjS7_T1_ ; -- Begin function _ZN2at6native28tensor_kernel_scan_outer_dimIN3c107complexIfEEmSt10multipliesIS4_EEEvPT_PKS7_jjjS7_T1_
	.globl	_ZN2at6native28tensor_kernel_scan_outer_dimIN3c107complexIfEEmSt10multipliesIS4_EEEvPT_PKS7_jjjS7_T1_
	.p2align	8
	.type	_ZN2at6native28tensor_kernel_scan_outer_dimIN3c107complexIfEEmSt10multipliesIS4_EEEvPT_PKS7_jjjS7_T1_,@function
_ZN2at6native28tensor_kernel_scan_outer_dimIN3c107complexIfEEmSt10multipliesIS4_EEEvPT_PKS7_jjjS7_T1_: ; @_ZN2at6native28tensor_kernel_scan_outer_dimIN3c107complexIfEEmSt10multipliesIS4_EEEvPT_PKS7_jjjS7_T1_
; %bb.0:
	s_load_b128 s[4:7], s[0:1], 0x10
	s_waitcnt lgkmcnt(0)
	s_cmp_ge_u32 s14, s4
	s_cbranch_scc1 .LBB80_9
; %bb.1:
	s_clause 0x3
	s_load_b32 s16, s[0:1], 0x3c
	s_load_b32 s7, s[0:1], 0x30
	s_load_b128 s[8:11], s[0:1], 0x0
	s_load_b64 s[2:3], s[0:1], 0x20
	s_add_u32 s12, s0, 48
	s_addc_u32 s13, s1, 0
	v_mov_b32_e32 v3, 0
	s_mov_b32 s19, 0
	s_mul_hi_u32 s17, s6, s5
	s_mov_b32 s18, s5
	s_waitcnt lgkmcnt(0)
	s_and_b32 s1, s16, 0xffff
	s_cmp_lg_u32 s6, 0
	v_mad_u64_u32 v[1:2], null, s15, s1, v[0:1]
	s_mul_i32 s16, s6, s5
	s_cselect_b32 s15, -1, 0
	s_lshl_b64 s[16:17], s[16:17], 3
	s_lshl_b64 s[18:19], s[18:19], 3
	s_delay_alu instid0(VALU_DEP_1)
	v_cmp_gt_u32_e64 s0, s5, v1
	s_branch .LBB80_3
.LBB80_2:                               ;   in Loop: Header=BB80_3 Depth=1
	s_set_inst_prefetch_distance 0x2
	s_or_b32 exec_lo, exec_lo, s20
	s_add_i32 s14, s14, s7
	s_delay_alu instid0(SALU_CYCLE_1)
	s_cmp_ge_u32 s14, s4
	s_cbranch_scc1 .LBB80_9
.LBB80_3:                               ; =>This Loop Header: Depth=1
                                        ;     Child Loop BB80_6 Depth 2
                                        ;       Child Loop BB80_8 Depth 3
	s_delay_alu instid0(VALU_DEP_1)
	s_and_saveexec_b32 s20, s0
	s_cbranch_execz .LBB80_2
; %bb.4:                                ;   in Loop: Header=BB80_3 Depth=1
	s_load_b32 s23, s[12:13], 0x4
	v_mov_b32_e32 v2, v1
	s_mul_i32 s22, s17, s14
	s_mul_hi_u32 s24, s16, s14
	s_mul_i32 s21, s16, s14
	s_add_i32 s22, s24, s22
	s_mov_b32 s24, 0
	s_waitcnt lgkmcnt(0)
	s_mul_i32 s23, s23, s1
	s_set_inst_prefetch_distance 0x1
	s_branch .LBB80_6
	.p2align	6
.LBB80_5:                               ;   in Loop: Header=BB80_6 Depth=2
	v_add_nc_u32_e32 v2, s23, v2
	s_delay_alu instid0(VALU_DEP_1) | instskip(SKIP_1) | instid1(SALU_CYCLE_1)
	v_cmp_le_u32_e32 vcc_lo, s5, v2
	s_or_b32 s24, vcc_lo, s24
	s_and_not1_b32 exec_lo, exec_lo, s24
	s_cbranch_execz .LBB80_2
.LBB80_6:                               ;   Parent Loop BB80_3 Depth=1
                                        ; =>  This Loop Header: Depth=2
                                        ;       Child Loop BB80_8 Depth 3
	s_and_not1_b32 vcc_lo, exec_lo, s15
	s_cbranch_vccnz .LBB80_5
; %bb.7:                                ;   in Loop: Header=BB80_6 Depth=2
	v_lshlrev_b64 v[6:7], 3, v[2:3]
	v_mov_b32_e32 v5, s3
	s_mov_b32 s25, s6
	s_delay_alu instid0(VALU_DEP_2) | instskip(SKIP_1) | instid1(VALU_DEP_4)
	v_add_co_u32 v0, vcc_lo, s21, v6
	v_mov_b32_e32 v6, s2
	v_add_co_ci_u32_e32 v4, vcc_lo, s22, v7, vcc_lo
	.p2align	6
.LBB80_8:                               ;   Parent Loop BB80_3 Depth=1
                                        ;     Parent Loop BB80_6 Depth=2
                                        ; =>    This Inner Loop Header: Depth=3
	s_delay_alu instid0(VALU_DEP_3) | instskip(NEXT) | instid1(VALU_DEP_2)
	v_add_co_u32 v7, vcc_lo, s10, v0
	v_add_co_ci_u32_e32 v8, vcc_lo, s11, v4, vcc_lo
	v_add_co_u32 v9, vcc_lo, s8, v0
	v_add_co_ci_u32_e32 v10, vcc_lo, s9, v4, vcc_lo
	global_load_b64 v[7:8], v[7:8], off
	v_add_co_u32 v0, vcc_lo, v0, s18
	v_add_co_ci_u32_e32 v4, vcc_lo, s19, v4, vcc_lo
	s_add_i32 s25, s25, -1
	s_delay_alu instid0(SALU_CYCLE_1) | instskip(SKIP_3) | instid1(VALU_DEP_2)
	s_cmp_eq_u32 s25, 0
	s_waitcnt vmcnt(0)
	v_mul_f32_e32 v11, v8, v5
	v_mul_f32_e32 v12, v8, v6
	v_fma_f32 v11, v7, v6, -v11
	s_delay_alu instid0(VALU_DEP_2) | instskip(NEXT) | instid1(VALU_DEP_1)
	v_fmac_f32_e32 v12, v7, v5
	v_dual_mov_b32 v6, v11 :: v_dual_mov_b32 v5, v12
	global_store_b64 v[9:10], v[11:12], off
	s_cbranch_scc0 .LBB80_8
	s_branch .LBB80_5
.LBB80_9:
	s_nop 0
	s_sendmsg sendmsg(MSG_DEALLOC_VGPRS)
	s_endpgm
	.section	.rodata,"a",@progbits
	.p2align	6, 0x0
	.amdhsa_kernel _ZN2at6native28tensor_kernel_scan_outer_dimIN3c107complexIfEEmSt10multipliesIS4_EEEvPT_PKS7_jjjS7_T1_
		.amdhsa_group_segment_fixed_size 0
		.amdhsa_private_segment_fixed_size 0
		.amdhsa_kernarg_size 304
		.amdhsa_user_sgpr_count 14
		.amdhsa_user_sgpr_dispatch_ptr 0
		.amdhsa_user_sgpr_queue_ptr 0
		.amdhsa_user_sgpr_kernarg_segment_ptr 1
		.amdhsa_user_sgpr_dispatch_id 0
		.amdhsa_user_sgpr_private_segment_size 0
		.amdhsa_wavefront_size32 1
		.amdhsa_uses_dynamic_stack 0
		.amdhsa_enable_private_segment 0
		.amdhsa_system_sgpr_workgroup_id_x 1
		.amdhsa_system_sgpr_workgroup_id_y 1
		.amdhsa_system_sgpr_workgroup_id_z 0
		.amdhsa_system_sgpr_workgroup_info 0
		.amdhsa_system_vgpr_workitem_id 0
		.amdhsa_next_free_vgpr 13
		.amdhsa_next_free_sgpr 26
		.amdhsa_reserve_vcc 1
		.amdhsa_float_round_mode_32 0
		.amdhsa_float_round_mode_16_64 0
		.amdhsa_float_denorm_mode_32 3
		.amdhsa_float_denorm_mode_16_64 3
		.amdhsa_dx10_clamp 1
		.amdhsa_ieee_mode 1
		.amdhsa_fp16_overflow 0
		.amdhsa_workgroup_processor_mode 1
		.amdhsa_memory_ordered 1
		.amdhsa_forward_progress 0
		.amdhsa_shared_vgpr_count 0
		.amdhsa_exception_fp_ieee_invalid_op 0
		.amdhsa_exception_fp_denorm_src 0
		.amdhsa_exception_fp_ieee_div_zero 0
		.amdhsa_exception_fp_ieee_overflow 0
		.amdhsa_exception_fp_ieee_underflow 0
		.amdhsa_exception_fp_ieee_inexact 0
		.amdhsa_exception_int_div_zero 0
	.end_amdhsa_kernel
	.section	.text._ZN2at6native28tensor_kernel_scan_outer_dimIN3c107complexIfEEmSt10multipliesIS4_EEEvPT_PKS7_jjjS7_T1_,"axG",@progbits,_ZN2at6native28tensor_kernel_scan_outer_dimIN3c107complexIfEEmSt10multipliesIS4_EEEvPT_PKS7_jjjS7_T1_,comdat
.Lfunc_end80:
	.size	_ZN2at6native28tensor_kernel_scan_outer_dimIN3c107complexIfEEmSt10multipliesIS4_EEEvPT_PKS7_jjjS7_T1_, .Lfunc_end80-_ZN2at6native28tensor_kernel_scan_outer_dimIN3c107complexIfEEmSt10multipliesIS4_EEEvPT_PKS7_jjjS7_T1_
                                        ; -- End function
	.section	.AMDGPU.csdata,"",@progbits
; Kernel info:
; codeLenInByte = 412
; NumSgprs: 28
; NumVgprs: 13
; ScratchSize: 0
; MemoryBound: 0
; FloatMode: 240
; IeeeMode: 1
; LDSByteSize: 0 bytes/workgroup (compile time only)
; SGPRBlocks: 3
; VGPRBlocks: 1
; NumSGPRsForWavesPerEU: 28
; NumVGPRsForWavesPerEU: 13
; Occupancy: 16
; WaveLimiterHint : 0
; COMPUTE_PGM_RSRC2:SCRATCH_EN: 0
; COMPUTE_PGM_RSRC2:USER_SGPR: 14
; COMPUTE_PGM_RSRC2:TRAP_HANDLER: 0
; COMPUTE_PGM_RSRC2:TGID_X_EN: 1
; COMPUTE_PGM_RSRC2:TGID_Y_EN: 1
; COMPUTE_PGM_RSRC2:TGID_Z_EN: 0
; COMPUTE_PGM_RSRC2:TIDIG_COMP_CNT: 0
	.section	.text._ZN7rocprim17ROCPRIM_304000_NS6detail31init_lookback_scan_state_kernelINS1_19lookback_scan_stateIN3c104HalfELb1ELb1EEEEEvT_jjPNS7_10value_typeE,"axG",@progbits,_ZN7rocprim17ROCPRIM_304000_NS6detail31init_lookback_scan_state_kernelINS1_19lookback_scan_stateIN3c104HalfELb1ELb1EEEEEvT_jjPNS7_10value_typeE,comdat
	.protected	_ZN7rocprim17ROCPRIM_304000_NS6detail31init_lookback_scan_state_kernelINS1_19lookback_scan_stateIN3c104HalfELb1ELb1EEEEEvT_jjPNS7_10value_typeE ; -- Begin function _ZN7rocprim17ROCPRIM_304000_NS6detail31init_lookback_scan_state_kernelINS1_19lookback_scan_stateIN3c104HalfELb1ELb1EEEEEvT_jjPNS7_10value_typeE
	.globl	_ZN7rocprim17ROCPRIM_304000_NS6detail31init_lookback_scan_state_kernelINS1_19lookback_scan_stateIN3c104HalfELb1ELb1EEEEEvT_jjPNS7_10value_typeE
	.p2align	8
	.type	_ZN7rocprim17ROCPRIM_304000_NS6detail31init_lookback_scan_state_kernelINS1_19lookback_scan_stateIN3c104HalfELb1ELb1EEEEEvT_jjPNS7_10value_typeE,@function
_ZN7rocprim17ROCPRIM_304000_NS6detail31init_lookback_scan_state_kernelINS1_19lookback_scan_stateIN3c104HalfELb1ELb1EEEEEvT_jjPNS7_10value_typeE: ; @_ZN7rocprim17ROCPRIM_304000_NS6detail31init_lookback_scan_state_kernelINS1_19lookback_scan_stateIN3c104HalfELb1ELb1EEEEEvT_jjPNS7_10value_typeE
; %bb.0:
	s_clause 0x2
	s_load_b32 s6, s[0:1], 0x24
	s_load_b64 s[4:5], s[0:1], 0x10
	s_load_b128 s[0:3], s[0:1], 0x0
	s_waitcnt lgkmcnt(0)
	s_and_b32 s6, s6, 0xffff
	s_cmp_eq_u64 s[4:5], 0
	v_mad_u64_u32 v[1:2], null, s15, s6, v[0:1]
	s_cbranch_scc1 .LBB81_9
; %bb.1:
	s_cmp_lt_u32 s3, s2
	s_mov_b32 s7, 0
	s_cselect_b32 s6, s3, 0
	s_mov_b32 s8, exec_lo
	s_delay_alu instid0(VALU_DEP_1)
	v_cmpx_eq_u32_e64 s6, v1
	s_cbranch_execz .LBB81_8
; %bb.2:
	s_add_i32 s6, s3, 32
	v_mov_b32_e32 v0, 0
	s_lshl_b64 s[6:7], s[6:7], 2
	s_delay_alu instid0(SALU_CYCLE_1) | instskip(SKIP_4) | instid1(VALU_DEP_1)
	s_add_u32 s6, s0, s6
	s_addc_u32 s7, s1, s7
	global_load_b32 v2, v0, s[6:7] glc
	s_waitcnt vmcnt(0)
	v_and_b32_e32 v3, 0xff0000, v2
	v_cmp_ne_u32_e32 vcc_lo, 0, v3
	s_cbranch_vccnz .LBB81_7
; %bb.3:
	s_mov_b32 s3, 1
.LBB81_4:                               ; =>This Loop Header: Depth=1
                                        ;     Child Loop BB81_5 Depth 2
	s_delay_alu instid0(SALU_CYCLE_1)
	s_max_u32 s9, s3, 1
.LBB81_5:                               ;   Parent Loop BB81_4 Depth=1
                                        ; =>  This Inner Loop Header: Depth=2
	s_delay_alu instid0(SALU_CYCLE_1)
	s_add_i32 s9, s9, -1
	s_sleep 1
	s_cmp_eq_u32 s9, 0
	s_cbranch_scc0 .LBB81_5
; %bb.6:                                ;   in Loop: Header=BB81_4 Depth=1
	global_load_b32 v2, v0, s[6:7] glc
	s_cmp_lt_u32 s3, 32
	s_cselect_b32 s9, -1, 0
	s_delay_alu instid0(SALU_CYCLE_1) | instskip(SKIP_3) | instid1(VALU_DEP_1)
	s_cmp_lg_u32 s9, 0
	s_addc_u32 s3, s3, 0
	s_waitcnt vmcnt(0)
	v_and_b32_e32 v3, 0xff0000, v2
	v_cmp_ne_u32_e32 vcc_lo, 0, v3
	s_cbranch_vccz .LBB81_4
.LBB81_7:
	v_mov_b32_e32 v0, 0
	global_store_b16 v0, v2, s[4:5]
.LBB81_8:
	s_or_b32 exec_lo, exec_lo, s8
.LBB81_9:
	s_delay_alu instid0(VALU_DEP_1)
	v_cmp_gt_u32_e32 vcc_lo, s2, v1
	s_and_saveexec_b32 s2, vcc_lo
	s_cbranch_execz .LBB81_11
; %bb.10:
	v_dual_mov_b32 v3, 0 :: v_dual_add_nc_u32 v2, 32, v1
	s_delay_alu instid0(VALU_DEP_1) | instskip(NEXT) | instid1(VALU_DEP_1)
	v_lshlrev_b64 v[4:5], 2, v[2:3]
	v_add_co_u32 v4, vcc_lo, s0, v4
	s_delay_alu instid0(VALU_DEP_2)
	v_add_co_ci_u32_e32 v5, vcc_lo, s1, v5, vcc_lo
	global_store_b32 v[4:5], v3, off
.LBB81_11:
	s_or_b32 exec_lo, exec_lo, s2
	s_delay_alu instid0(SALU_CYCLE_1)
	s_mov_b32 s2, exec_lo
	v_cmpx_gt_u32_e32 32, v1
	s_cbranch_execz .LBB81_13
; %bb.12:
	v_mov_b32_e32 v2, 0
	s_delay_alu instid0(VALU_DEP_1) | instskip(SKIP_1) | instid1(VALU_DEP_2)
	v_lshlrev_b64 v[0:1], 2, v[1:2]
	v_mov_b32_e32 v2, 0xff0000
	v_add_co_u32 v0, vcc_lo, s0, v0
	s_delay_alu instid0(VALU_DEP_3)
	v_add_co_ci_u32_e32 v1, vcc_lo, s1, v1, vcc_lo
	global_store_b32 v[0:1], v2, off
.LBB81_13:
	s_nop 0
	s_sendmsg sendmsg(MSG_DEALLOC_VGPRS)
	s_endpgm
	.section	.rodata,"a",@progbits
	.p2align	6, 0x0
	.amdhsa_kernel _ZN7rocprim17ROCPRIM_304000_NS6detail31init_lookback_scan_state_kernelINS1_19lookback_scan_stateIN3c104HalfELb1ELb1EEEEEvT_jjPNS7_10value_typeE
		.amdhsa_group_segment_fixed_size 0
		.amdhsa_private_segment_fixed_size 0
		.amdhsa_kernarg_size 280
		.amdhsa_user_sgpr_count 15
		.amdhsa_user_sgpr_dispatch_ptr 0
		.amdhsa_user_sgpr_queue_ptr 0
		.amdhsa_user_sgpr_kernarg_segment_ptr 1
		.amdhsa_user_sgpr_dispatch_id 0
		.amdhsa_user_sgpr_private_segment_size 0
		.amdhsa_wavefront_size32 1
		.amdhsa_uses_dynamic_stack 0
		.amdhsa_enable_private_segment 0
		.amdhsa_system_sgpr_workgroup_id_x 1
		.amdhsa_system_sgpr_workgroup_id_y 0
		.amdhsa_system_sgpr_workgroup_id_z 0
		.amdhsa_system_sgpr_workgroup_info 0
		.amdhsa_system_vgpr_workitem_id 0
		.amdhsa_next_free_vgpr 6
		.amdhsa_next_free_sgpr 16
		.amdhsa_reserve_vcc 1
		.amdhsa_float_round_mode_32 0
		.amdhsa_float_round_mode_16_64 0
		.amdhsa_float_denorm_mode_32 3
		.amdhsa_float_denorm_mode_16_64 3
		.amdhsa_dx10_clamp 1
		.amdhsa_ieee_mode 1
		.amdhsa_fp16_overflow 0
		.amdhsa_workgroup_processor_mode 1
		.amdhsa_memory_ordered 1
		.amdhsa_forward_progress 0
		.amdhsa_shared_vgpr_count 0
		.amdhsa_exception_fp_ieee_invalid_op 0
		.amdhsa_exception_fp_denorm_src 0
		.amdhsa_exception_fp_ieee_div_zero 0
		.amdhsa_exception_fp_ieee_overflow 0
		.amdhsa_exception_fp_ieee_underflow 0
		.amdhsa_exception_fp_ieee_inexact 0
		.amdhsa_exception_int_div_zero 0
	.end_amdhsa_kernel
	.section	.text._ZN7rocprim17ROCPRIM_304000_NS6detail31init_lookback_scan_state_kernelINS1_19lookback_scan_stateIN3c104HalfELb1ELb1EEEEEvT_jjPNS7_10value_typeE,"axG",@progbits,_ZN7rocprim17ROCPRIM_304000_NS6detail31init_lookback_scan_state_kernelINS1_19lookback_scan_stateIN3c104HalfELb1ELb1EEEEEvT_jjPNS7_10value_typeE,comdat
.Lfunc_end81:
	.size	_ZN7rocprim17ROCPRIM_304000_NS6detail31init_lookback_scan_state_kernelINS1_19lookback_scan_stateIN3c104HalfELb1ELb1EEEEEvT_jjPNS7_10value_typeE, .Lfunc_end81-_ZN7rocprim17ROCPRIM_304000_NS6detail31init_lookback_scan_state_kernelINS1_19lookback_scan_stateIN3c104HalfELb1ELb1EEEEEvT_jjPNS7_10value_typeE
                                        ; -- End function
	.section	.AMDGPU.csdata,"",@progbits
; Kernel info:
; codeLenInByte = 376
; NumSgprs: 18
; NumVgprs: 6
; ScratchSize: 0
; MemoryBound: 0
; FloatMode: 240
; IeeeMode: 1
; LDSByteSize: 0 bytes/workgroup (compile time only)
; SGPRBlocks: 2
; VGPRBlocks: 0
; NumSGPRsForWavesPerEU: 18
; NumVGPRsForWavesPerEU: 6
; Occupancy: 16
; WaveLimiterHint : 0
; COMPUTE_PGM_RSRC2:SCRATCH_EN: 0
; COMPUTE_PGM_RSRC2:USER_SGPR: 15
; COMPUTE_PGM_RSRC2:TRAP_HANDLER: 0
; COMPUTE_PGM_RSRC2:TGID_X_EN: 1
; COMPUTE_PGM_RSRC2:TGID_Y_EN: 0
; COMPUTE_PGM_RSRC2:TGID_Z_EN: 0
; COMPUTE_PGM_RSRC2:TIDIG_COMP_CNT: 0
	.section	.text._ZN7rocprim17ROCPRIM_304000_NS6detail31init_lookback_scan_state_kernelINS1_19lookback_scan_stateIN3c104HalfELb0ELb1EEEEEvT_jjPNS7_10value_typeE,"axG",@progbits,_ZN7rocprim17ROCPRIM_304000_NS6detail31init_lookback_scan_state_kernelINS1_19lookback_scan_stateIN3c104HalfELb0ELb1EEEEEvT_jjPNS7_10value_typeE,comdat
	.protected	_ZN7rocprim17ROCPRIM_304000_NS6detail31init_lookback_scan_state_kernelINS1_19lookback_scan_stateIN3c104HalfELb0ELb1EEEEEvT_jjPNS7_10value_typeE ; -- Begin function _ZN7rocprim17ROCPRIM_304000_NS6detail31init_lookback_scan_state_kernelINS1_19lookback_scan_stateIN3c104HalfELb0ELb1EEEEEvT_jjPNS7_10value_typeE
	.globl	_ZN7rocprim17ROCPRIM_304000_NS6detail31init_lookback_scan_state_kernelINS1_19lookback_scan_stateIN3c104HalfELb0ELb1EEEEEvT_jjPNS7_10value_typeE
	.p2align	8
	.type	_ZN7rocprim17ROCPRIM_304000_NS6detail31init_lookback_scan_state_kernelINS1_19lookback_scan_stateIN3c104HalfELb0ELb1EEEEEvT_jjPNS7_10value_typeE,@function
_ZN7rocprim17ROCPRIM_304000_NS6detail31init_lookback_scan_state_kernelINS1_19lookback_scan_stateIN3c104HalfELb0ELb1EEEEEvT_jjPNS7_10value_typeE: ; @_ZN7rocprim17ROCPRIM_304000_NS6detail31init_lookback_scan_state_kernelINS1_19lookback_scan_stateIN3c104HalfELb0ELb1EEEEEvT_jjPNS7_10value_typeE
; %bb.0:
	s_clause 0x2
	s_load_b32 s6, s[0:1], 0x24
	s_load_b64 s[4:5], s[0:1], 0x10
	s_load_b128 s[0:3], s[0:1], 0x0
	s_waitcnt lgkmcnt(0)
	s_and_b32 s6, s6, 0xffff
	s_cmp_eq_u64 s[4:5], 0
	v_mad_u64_u32 v[1:2], null, s15, s6, v[0:1]
	s_cbranch_scc1 .LBB82_6
; %bb.1:
	s_cmp_lt_u32 s3, s2
	s_mov_b32 s7, 0
	s_cselect_b32 s6, s3, 0
	s_mov_b32 s8, exec_lo
	s_delay_alu instid0(VALU_DEP_1)
	v_cmpx_eq_u32_e64 s6, v1
	s_cbranch_execz .LBB82_5
; %bb.2:
	s_add_i32 s6, s3, 32
	v_mov_b32_e32 v2, 0
	s_lshl_b64 s[6:7], s[6:7], 2
	s_delay_alu instid0(SALU_CYCLE_1) | instskip(SKIP_4) | instid1(VALU_DEP_1)
	s_add_u32 s6, s0, s6
	s_addc_u32 s7, s1, s7
	global_load_b32 v0, v2, s[6:7] glc
	s_waitcnt vmcnt(0)
	v_and_b32_e32 v3, 0xff0000, v0
	v_cmp_ne_u32_e32 vcc_lo, 0, v3
	s_cbranch_vccnz .LBB82_4
.LBB82_3:                               ; =>This Inner Loop Header: Depth=1
	global_load_b32 v0, v2, s[6:7] glc
	s_waitcnt vmcnt(0)
	v_and_b32_e32 v3, 0xff0000, v0
	s_delay_alu instid0(VALU_DEP_1)
	v_cmp_eq_u32_e32 vcc_lo, 0, v3
	s_cbranch_vccnz .LBB82_3
.LBB82_4:
	v_mov_b32_e32 v2, 0
	global_store_b16 v2, v0, s[4:5]
.LBB82_5:
	s_or_b32 exec_lo, exec_lo, s8
.LBB82_6:
	s_delay_alu instid0(VALU_DEP_1)
	v_cmp_gt_u32_e32 vcc_lo, s2, v1
	s_and_saveexec_b32 s2, vcc_lo
	s_cbranch_execz .LBB82_8
; %bb.7:
	v_dual_mov_b32 v3, 0 :: v_dual_add_nc_u32 v2, 32, v1
	s_delay_alu instid0(VALU_DEP_1) | instskip(NEXT) | instid1(VALU_DEP_1)
	v_lshlrev_b64 v[4:5], 2, v[2:3]
	v_add_co_u32 v4, vcc_lo, s0, v4
	s_delay_alu instid0(VALU_DEP_2)
	v_add_co_ci_u32_e32 v5, vcc_lo, s1, v5, vcc_lo
	global_store_b32 v[4:5], v3, off
.LBB82_8:
	s_or_b32 exec_lo, exec_lo, s2
	s_delay_alu instid0(SALU_CYCLE_1)
	s_mov_b32 s2, exec_lo
	v_cmpx_gt_u32_e32 32, v1
	s_cbranch_execz .LBB82_10
; %bb.9:
	v_mov_b32_e32 v2, 0
	s_delay_alu instid0(VALU_DEP_1) | instskip(SKIP_1) | instid1(VALU_DEP_2)
	v_lshlrev_b64 v[0:1], 2, v[1:2]
	v_mov_b32_e32 v2, 0xff0000
	v_add_co_u32 v0, vcc_lo, s0, v0
	s_delay_alu instid0(VALU_DEP_3)
	v_add_co_ci_u32_e32 v1, vcc_lo, s1, v1, vcc_lo
	global_store_b32 v[0:1], v2, off
.LBB82_10:
	s_nop 0
	s_sendmsg sendmsg(MSG_DEALLOC_VGPRS)
	s_endpgm
	.section	.rodata,"a",@progbits
	.p2align	6, 0x0
	.amdhsa_kernel _ZN7rocprim17ROCPRIM_304000_NS6detail31init_lookback_scan_state_kernelINS1_19lookback_scan_stateIN3c104HalfELb0ELb1EEEEEvT_jjPNS7_10value_typeE
		.amdhsa_group_segment_fixed_size 0
		.amdhsa_private_segment_fixed_size 0
		.amdhsa_kernarg_size 280
		.amdhsa_user_sgpr_count 15
		.amdhsa_user_sgpr_dispatch_ptr 0
		.amdhsa_user_sgpr_queue_ptr 0
		.amdhsa_user_sgpr_kernarg_segment_ptr 1
		.amdhsa_user_sgpr_dispatch_id 0
		.amdhsa_user_sgpr_private_segment_size 0
		.amdhsa_wavefront_size32 1
		.amdhsa_uses_dynamic_stack 0
		.amdhsa_enable_private_segment 0
		.amdhsa_system_sgpr_workgroup_id_x 1
		.amdhsa_system_sgpr_workgroup_id_y 0
		.amdhsa_system_sgpr_workgroup_id_z 0
		.amdhsa_system_sgpr_workgroup_info 0
		.amdhsa_system_vgpr_workitem_id 0
		.amdhsa_next_free_vgpr 6
		.amdhsa_next_free_sgpr 16
		.amdhsa_reserve_vcc 1
		.amdhsa_float_round_mode_32 0
		.amdhsa_float_round_mode_16_64 0
		.amdhsa_float_denorm_mode_32 3
		.amdhsa_float_denorm_mode_16_64 3
		.amdhsa_dx10_clamp 1
		.amdhsa_ieee_mode 1
		.amdhsa_fp16_overflow 0
		.amdhsa_workgroup_processor_mode 1
		.amdhsa_memory_ordered 1
		.amdhsa_forward_progress 0
		.amdhsa_shared_vgpr_count 0
		.amdhsa_exception_fp_ieee_invalid_op 0
		.amdhsa_exception_fp_denorm_src 0
		.amdhsa_exception_fp_ieee_div_zero 0
		.amdhsa_exception_fp_ieee_overflow 0
		.amdhsa_exception_fp_ieee_underflow 0
		.amdhsa_exception_fp_ieee_inexact 0
		.amdhsa_exception_int_div_zero 0
	.end_amdhsa_kernel
	.section	.text._ZN7rocprim17ROCPRIM_304000_NS6detail31init_lookback_scan_state_kernelINS1_19lookback_scan_stateIN3c104HalfELb0ELb1EEEEEvT_jjPNS7_10value_typeE,"axG",@progbits,_ZN7rocprim17ROCPRIM_304000_NS6detail31init_lookback_scan_state_kernelINS1_19lookback_scan_stateIN3c104HalfELb0ELb1EEEEEvT_jjPNS7_10value_typeE,comdat
.Lfunc_end82:
	.size	_ZN7rocprim17ROCPRIM_304000_NS6detail31init_lookback_scan_state_kernelINS1_19lookback_scan_stateIN3c104HalfELb0ELb1EEEEEvT_jjPNS7_10value_typeE, .Lfunc_end82-_ZN7rocprim17ROCPRIM_304000_NS6detail31init_lookback_scan_state_kernelINS1_19lookback_scan_stateIN3c104HalfELb0ELb1EEEEEvT_jjPNS7_10value_typeE
                                        ; -- End function
	.section	.AMDGPU.csdata,"",@progbits
; Kernel info:
; codeLenInByte = 328
; NumSgprs: 18
; NumVgprs: 6
; ScratchSize: 0
; MemoryBound: 0
; FloatMode: 240
; IeeeMode: 1
; LDSByteSize: 0 bytes/workgroup (compile time only)
; SGPRBlocks: 2
; VGPRBlocks: 0
; NumSGPRsForWavesPerEU: 18
; NumVGPRsForWavesPerEU: 6
; Occupancy: 16
; WaveLimiterHint : 0
; COMPUTE_PGM_RSRC2:SCRATCH_EN: 0
; COMPUTE_PGM_RSRC2:USER_SGPR: 15
; COMPUTE_PGM_RSRC2:TRAP_HANDLER: 0
; COMPUTE_PGM_RSRC2:TGID_X_EN: 1
; COMPUTE_PGM_RSRC2:TGID_Y_EN: 0
; COMPUTE_PGM_RSRC2:TGID_Z_EN: 0
; COMPUTE_PGM_RSRC2:TIDIG_COMP_CNT: 0
	.section	.text._ZN7rocprim17ROCPRIM_304000_NS6detail20lookback_scan_kernelILNS1_25lookback_scan_determinismE0ELb0ENS1_19wrapped_scan_configINS0_14default_configEN3c104HalfEEEPKS7_PS7_St10multipliesIS7_ES7_S7_NS1_19lookback_scan_stateIS7_Lb1ELb1EEEEEvT2_T3_mT5_T4_T7_jPT6_SM_bb,"axG",@progbits,_ZN7rocprim17ROCPRIM_304000_NS6detail20lookback_scan_kernelILNS1_25lookback_scan_determinismE0ELb0ENS1_19wrapped_scan_configINS0_14default_configEN3c104HalfEEEPKS7_PS7_St10multipliesIS7_ES7_S7_NS1_19lookback_scan_stateIS7_Lb1ELb1EEEEEvT2_T3_mT5_T4_T7_jPT6_SM_bb,comdat
	.protected	_ZN7rocprim17ROCPRIM_304000_NS6detail20lookback_scan_kernelILNS1_25lookback_scan_determinismE0ELb0ENS1_19wrapped_scan_configINS0_14default_configEN3c104HalfEEEPKS7_PS7_St10multipliesIS7_ES7_S7_NS1_19lookback_scan_stateIS7_Lb1ELb1EEEEEvT2_T3_mT5_T4_T7_jPT6_SM_bb ; -- Begin function _ZN7rocprim17ROCPRIM_304000_NS6detail20lookback_scan_kernelILNS1_25lookback_scan_determinismE0ELb0ENS1_19wrapped_scan_configINS0_14default_configEN3c104HalfEEEPKS7_PS7_St10multipliesIS7_ES7_S7_NS1_19lookback_scan_stateIS7_Lb1ELb1EEEEEvT2_T3_mT5_T4_T7_jPT6_SM_bb
	.globl	_ZN7rocprim17ROCPRIM_304000_NS6detail20lookback_scan_kernelILNS1_25lookback_scan_determinismE0ELb0ENS1_19wrapped_scan_configINS0_14default_configEN3c104HalfEEEPKS7_PS7_St10multipliesIS7_ES7_S7_NS1_19lookback_scan_stateIS7_Lb1ELb1EEEEEvT2_T3_mT5_T4_T7_jPT6_SM_bb
	.p2align	8
	.type	_ZN7rocprim17ROCPRIM_304000_NS6detail20lookback_scan_kernelILNS1_25lookback_scan_determinismE0ELb0ENS1_19wrapped_scan_configINS0_14default_configEN3c104HalfEEEPKS7_PS7_St10multipliesIS7_ES7_S7_NS1_19lookback_scan_stateIS7_Lb1ELb1EEEEEvT2_T3_mT5_T4_T7_jPT6_SM_bb,@function
_ZN7rocprim17ROCPRIM_304000_NS6detail20lookback_scan_kernelILNS1_25lookback_scan_determinismE0ELb0ENS1_19wrapped_scan_configINS0_14default_configEN3c104HalfEEEPKS7_PS7_St10multipliesIS7_ES7_S7_NS1_19lookback_scan_stateIS7_Lb1ELb1EEEEEvT2_T3_mT5_T4_T7_jPT6_SM_bb: ; @_ZN7rocprim17ROCPRIM_304000_NS6detail20lookback_scan_kernelILNS1_25lookback_scan_determinismE0ELb0ENS1_19wrapped_scan_configINS0_14default_configEN3c104HalfEEEPKS7_PS7_St10multipliesIS7_ES7_S7_NS1_19lookback_scan_stateIS7_Lb1ELb1EEEEEvT2_T3_mT5_T4_T7_jPT6_SM_bb
; %bb.0:
	s_endpgm
	.section	.rodata,"a",@progbits
	.p2align	6, 0x0
	.amdhsa_kernel _ZN7rocprim17ROCPRIM_304000_NS6detail20lookback_scan_kernelILNS1_25lookback_scan_determinismE0ELb0ENS1_19wrapped_scan_configINS0_14default_configEN3c104HalfEEEPKS7_PS7_St10multipliesIS7_ES7_S7_NS1_19lookback_scan_stateIS7_Lb1ELb1EEEEEvT2_T3_mT5_T4_T7_jPT6_SM_bb
		.amdhsa_group_segment_fixed_size 0
		.amdhsa_private_segment_fixed_size 0
		.amdhsa_kernarg_size 68
		.amdhsa_user_sgpr_count 15
		.amdhsa_user_sgpr_dispatch_ptr 0
		.amdhsa_user_sgpr_queue_ptr 0
		.amdhsa_user_sgpr_kernarg_segment_ptr 1
		.amdhsa_user_sgpr_dispatch_id 0
		.amdhsa_user_sgpr_private_segment_size 0
		.amdhsa_wavefront_size32 1
		.amdhsa_uses_dynamic_stack 0
		.amdhsa_enable_private_segment 0
		.amdhsa_system_sgpr_workgroup_id_x 1
		.amdhsa_system_sgpr_workgroup_id_y 0
		.amdhsa_system_sgpr_workgroup_id_z 0
		.amdhsa_system_sgpr_workgroup_info 0
		.amdhsa_system_vgpr_workitem_id 0
		.amdhsa_next_free_vgpr 1
		.amdhsa_next_free_sgpr 1
		.amdhsa_reserve_vcc 0
		.amdhsa_float_round_mode_32 0
		.amdhsa_float_round_mode_16_64 0
		.amdhsa_float_denorm_mode_32 3
		.amdhsa_float_denorm_mode_16_64 3
		.amdhsa_dx10_clamp 1
		.amdhsa_ieee_mode 1
		.amdhsa_fp16_overflow 0
		.amdhsa_workgroup_processor_mode 1
		.amdhsa_memory_ordered 1
		.amdhsa_forward_progress 0
		.amdhsa_shared_vgpr_count 0
		.amdhsa_exception_fp_ieee_invalid_op 0
		.amdhsa_exception_fp_denorm_src 0
		.amdhsa_exception_fp_ieee_div_zero 0
		.amdhsa_exception_fp_ieee_overflow 0
		.amdhsa_exception_fp_ieee_underflow 0
		.amdhsa_exception_fp_ieee_inexact 0
		.amdhsa_exception_int_div_zero 0
	.end_amdhsa_kernel
	.section	.text._ZN7rocprim17ROCPRIM_304000_NS6detail20lookback_scan_kernelILNS1_25lookback_scan_determinismE0ELb0ENS1_19wrapped_scan_configINS0_14default_configEN3c104HalfEEEPKS7_PS7_St10multipliesIS7_ES7_S7_NS1_19lookback_scan_stateIS7_Lb1ELb1EEEEEvT2_T3_mT5_T4_T7_jPT6_SM_bb,"axG",@progbits,_ZN7rocprim17ROCPRIM_304000_NS6detail20lookback_scan_kernelILNS1_25lookback_scan_determinismE0ELb0ENS1_19wrapped_scan_configINS0_14default_configEN3c104HalfEEEPKS7_PS7_St10multipliesIS7_ES7_S7_NS1_19lookback_scan_stateIS7_Lb1ELb1EEEEEvT2_T3_mT5_T4_T7_jPT6_SM_bb,comdat
.Lfunc_end83:
	.size	_ZN7rocprim17ROCPRIM_304000_NS6detail20lookback_scan_kernelILNS1_25lookback_scan_determinismE0ELb0ENS1_19wrapped_scan_configINS0_14default_configEN3c104HalfEEEPKS7_PS7_St10multipliesIS7_ES7_S7_NS1_19lookback_scan_stateIS7_Lb1ELb1EEEEEvT2_T3_mT5_T4_T7_jPT6_SM_bb, .Lfunc_end83-_ZN7rocprim17ROCPRIM_304000_NS6detail20lookback_scan_kernelILNS1_25lookback_scan_determinismE0ELb0ENS1_19wrapped_scan_configINS0_14default_configEN3c104HalfEEEPKS7_PS7_St10multipliesIS7_ES7_S7_NS1_19lookback_scan_stateIS7_Lb1ELb1EEEEEvT2_T3_mT5_T4_T7_jPT6_SM_bb
                                        ; -- End function
	.section	.AMDGPU.csdata,"",@progbits
; Kernel info:
; codeLenInByte = 4
; NumSgprs: 0
; NumVgprs: 0
; ScratchSize: 0
; MemoryBound: 0
; FloatMode: 240
; IeeeMode: 1
; LDSByteSize: 0 bytes/workgroup (compile time only)
; SGPRBlocks: 0
; VGPRBlocks: 0
; NumSGPRsForWavesPerEU: 1
; NumVGPRsForWavesPerEU: 1
; Occupancy: 16
; WaveLimiterHint : 0
; COMPUTE_PGM_RSRC2:SCRATCH_EN: 0
; COMPUTE_PGM_RSRC2:USER_SGPR: 15
; COMPUTE_PGM_RSRC2:TRAP_HANDLER: 0
; COMPUTE_PGM_RSRC2:TGID_X_EN: 1
; COMPUTE_PGM_RSRC2:TGID_Y_EN: 0
; COMPUTE_PGM_RSRC2:TGID_Z_EN: 0
; COMPUTE_PGM_RSRC2:TIDIG_COMP_CNT: 0
	.section	.text._ZN7rocprim17ROCPRIM_304000_NS6detail20lookback_scan_kernelILNS1_25lookback_scan_determinismE0ELb0ENS1_19wrapped_scan_configINS0_14default_configEN3c104HalfEEEPKS7_PS7_St10multipliesIS7_ES7_S7_NS1_19lookback_scan_stateIS7_Lb0ELb1EEEEEvT2_T3_mT5_T4_T7_jPT6_SM_bb,"axG",@progbits,_ZN7rocprim17ROCPRIM_304000_NS6detail20lookback_scan_kernelILNS1_25lookback_scan_determinismE0ELb0ENS1_19wrapped_scan_configINS0_14default_configEN3c104HalfEEEPKS7_PS7_St10multipliesIS7_ES7_S7_NS1_19lookback_scan_stateIS7_Lb0ELb1EEEEEvT2_T3_mT5_T4_T7_jPT6_SM_bb,comdat
	.protected	_ZN7rocprim17ROCPRIM_304000_NS6detail20lookback_scan_kernelILNS1_25lookback_scan_determinismE0ELb0ENS1_19wrapped_scan_configINS0_14default_configEN3c104HalfEEEPKS7_PS7_St10multipliesIS7_ES7_S7_NS1_19lookback_scan_stateIS7_Lb0ELb1EEEEEvT2_T3_mT5_T4_T7_jPT6_SM_bb ; -- Begin function _ZN7rocprim17ROCPRIM_304000_NS6detail20lookback_scan_kernelILNS1_25lookback_scan_determinismE0ELb0ENS1_19wrapped_scan_configINS0_14default_configEN3c104HalfEEEPKS7_PS7_St10multipliesIS7_ES7_S7_NS1_19lookback_scan_stateIS7_Lb0ELb1EEEEEvT2_T3_mT5_T4_T7_jPT6_SM_bb
	.globl	_ZN7rocprim17ROCPRIM_304000_NS6detail20lookback_scan_kernelILNS1_25lookback_scan_determinismE0ELb0ENS1_19wrapped_scan_configINS0_14default_configEN3c104HalfEEEPKS7_PS7_St10multipliesIS7_ES7_S7_NS1_19lookback_scan_stateIS7_Lb0ELb1EEEEEvT2_T3_mT5_T4_T7_jPT6_SM_bb
	.p2align	8
	.type	_ZN7rocprim17ROCPRIM_304000_NS6detail20lookback_scan_kernelILNS1_25lookback_scan_determinismE0ELb0ENS1_19wrapped_scan_configINS0_14default_configEN3c104HalfEEEPKS7_PS7_St10multipliesIS7_ES7_S7_NS1_19lookback_scan_stateIS7_Lb0ELb1EEEEEvT2_T3_mT5_T4_T7_jPT6_SM_bb,@function
_ZN7rocprim17ROCPRIM_304000_NS6detail20lookback_scan_kernelILNS1_25lookback_scan_determinismE0ELb0ENS1_19wrapped_scan_configINS0_14default_configEN3c104HalfEEEPKS7_PS7_St10multipliesIS7_ES7_S7_NS1_19lookback_scan_stateIS7_Lb0ELb1EEEEEvT2_T3_mT5_T4_T7_jPT6_SM_bb: ; @_ZN7rocprim17ROCPRIM_304000_NS6detail20lookback_scan_kernelILNS1_25lookback_scan_determinismE0ELb0ENS1_19wrapped_scan_configINS0_14default_configEN3c104HalfEEEPKS7_PS7_St10multipliesIS7_ES7_S7_NS1_19lookback_scan_stateIS7_Lb0ELb1EEEEEvT2_T3_mT5_T4_T7_jPT6_SM_bb
; %bb.0:
	s_clause 0x2
	s_load_b32 s4, s[0:1], 0x28
	s_load_b64 s[2:3], s[0:1], 0x10
	s_load_b128 s[8:11], s[0:1], 0x0
	s_mov_b32 s5, 0
	v_lshlrev_b32_e32 v15, 1, v0
	s_waitcnt lgkmcnt(0)
	s_add_i32 s4, s4, -1
	s_delay_alu instid0(SALU_CYCLE_1) | instskip(NEXT) | instid1(SALU_CYCLE_1)
	s_mul_i32 s6, s4, 0x580
	s_sub_u32 s14, s2, s6
	s_subb_u32 s16, s3, 0
	s_cmp_lg_u32 s15, s4
	s_mul_i32 s4, s15, 0x580
	s_cselect_b32 s17, -1, 0
	s_lshl_b64 s[12:13], s[4:5], 1
	s_mov_b32 s3, -1
	s_add_u32 s4, s8, s12
	s_addc_u32 s5, s9, s13
	s_and_b32 vcc_lo, exec_lo, s17
	s_cbranch_vccz .LBB84_2
; %bb.1:
	s_clause 0x15
	global_load_u16 v1, v15, s[4:5]
	global_load_u16 v2, v15, s[4:5] offset:128
	global_load_u16 v3, v15, s[4:5] offset:256
	;; [unrolled: 1-line block ×21, first 2 shown]
	s_mov_b32 s3, 0
	s_waitcnt vmcnt(21)
	ds_store_b16 v15, v1
	s_waitcnt vmcnt(20)
	ds_store_b16 v15, v2 offset:128
	s_waitcnt vmcnt(19)
	ds_store_b16 v15, v3 offset:256
	;; [unrolled: 2-line block ×21, first 2 shown]
	s_waitcnt lgkmcnt(0)
	s_barrier
.LBB84_2:
	v_cmp_gt_u32_e64 s2, s14, v0
	s_and_not1_b32 vcc_lo, exec_lo, s3
	s_cbranch_vccnz .LBB84_48
; %bb.3:
	v_mov_b32_e32 v1, 0
	global_load_u16 v3, v1, s[4:5]
	v_add_co_u32 v1, s3, s4, v15
	s_delay_alu instid0(VALU_DEP_1)
	v_add_co_ci_u32_e64 v2, null, s5, 0, s3
	s_waitcnt vmcnt(0)
	v_mov_b32_e32 v4, v3
	s_and_saveexec_b32 s3, s2
	s_cbranch_execz .LBB84_5
; %bb.4:
	global_load_u16 v4, v[1:2], off
.LBB84_5:
	s_or_b32 exec_lo, exec_lo, s3
	v_or_b32_e32 v5, 64, v0
	s_delay_alu instid0(VALU_DEP_1)
	v_cmp_gt_u32_e32 vcc_lo, s14, v5
	v_mov_b32_e32 v5, v3
	s_and_saveexec_b32 s2, vcc_lo
	s_cbranch_execz .LBB84_7
; %bb.6:
	global_load_u16 v5, v[1:2], off offset:128
.LBB84_7:
	s_or_b32 exec_lo, exec_lo, s2
	v_or_b32_e32 v6, 0x80, v0
	s_delay_alu instid0(VALU_DEP_1)
	v_cmp_gt_u32_e32 vcc_lo, s14, v6
	v_mov_b32_e32 v6, v3
	s_and_saveexec_b32 s2, vcc_lo
	s_cbranch_execz .LBB84_9
; %bb.8:
	global_load_u16 v6, v[1:2], off offset:256
.LBB84_9:
	;; [unrolled: 10-line block ×20, first 2 shown]
	s_or_b32 exec_lo, exec_lo, s2
	v_or_b32_e32 v26, 0x540, v0
	s_mov_b32 s2, exec_lo
	s_delay_alu instid0(VALU_DEP_1)
	v_cmpx_gt_u32_e64 s14, v26
	s_cbranch_execz .LBB84_47
; %bb.46:
	global_load_u16 v3, v[1:2], off offset:2688
.LBB84_47:
	s_or_b32 exec_lo, exec_lo, s2
	s_waitcnt vmcnt(0)
	ds_store_b16 v15, v4
	ds_store_b16 v15, v5 offset:128
	ds_store_b16 v15, v6 offset:256
	;; [unrolled: 1-line block ×21, first 2 shown]
	s_waitcnt lgkmcnt(0)
	s_barrier
.LBB84_48:
	v_mul_u32_u24_e32 v16, 22, v0
	buffer_gl0_inv
	s_load_b64 s[8:9], s[0:1], 0x20
	v_lshrrev_b32_e32 v30, 5, v0
	v_cmp_gt_u32_e32 vcc_lo, 32, v0
	v_lshlrev_b32_e32 v17, 1, v16
	s_cmp_lg_u32 s15, 0
	ds_load_2addr_b32 v[1:2], v17 offset1:1
	ds_load_2addr_b32 v[9:10], v17 offset0:2 offset1:3
	ds_load_2addr_b32 v[7:8], v17 offset0:4 offset1:5
	;; [unrolled: 1-line block ×4, first 2 shown]
	ds_load_b32 v18, v17 offset:40
	s_waitcnt lgkmcnt(0)
	s_barrier
	buffer_gl0_inv
	v_lshrrev_b32_e32 v29, 16, v1
	v_lshrrev_b32_e32 v28, 16, v2
	;; [unrolled: 1-line block ×11, first 2 shown]
	s_cbranch_scc0 .LBB84_77
; %bb.49:
	v_mul_f16_e32 v11, v1, v29
	v_add_lshl_u32 v12, v30, v0, 1
	s_delay_alu instid0(VALU_DEP_2) | instskip(NEXT) | instid1(VALU_DEP_1)
	v_mul_f16_e32 v11, v11, v2
	v_mul_f16_e32 v11, v11, v28
	s_delay_alu instid0(VALU_DEP_1) | instskip(NEXT) | instid1(VALU_DEP_1)
	v_mul_f16_e32 v11, v11, v9
	v_mul_f16_e32 v11, v11, v27
	s_delay_alu instid0(VALU_DEP_1) | instskip(NEXT) | instid1(VALU_DEP_1)
	;; [unrolled: 3-line block ×9, first 2 shown]
	v_mul_f16_e32 v11, v11, v18
	v_mul_f16_e32 v31, v11, v19
	ds_store_b16 v12, v31
	s_waitcnt lgkmcnt(0)
	s_barrier
	buffer_gl0_inv
	s_and_saveexec_b32 s3, vcc_lo
	s_cbranch_execz .LBB84_51
; %bb.50:
	v_lshrrev_b32_e32 v11, 3, v0
	v_mbcnt_lo_u32_b32 v33, -1, 0
	s_delay_alu instid0(VALU_DEP_2) | instskip(NEXT) | instid1(VALU_DEP_2)
	v_and_b32_e32 v11, 6, v11
	v_and_b32_e32 v34, 15, v33
	v_add_nc_u32_e32 v35, -1, v33
	s_delay_alu instid0(VALU_DEP_3) | instskip(NEXT) | instid1(VALU_DEP_3)
	v_lshl_or_b32 v11, v0, 2, v11
	v_cmp_eq_u32_e64 s2, 0, v34
	ds_load_u16 v12, v11
	ds_load_u16 v13, v11 offset:2
	s_waitcnt lgkmcnt(0)
	v_mul_f16_e32 v14, v12, v13
	s_delay_alu instid0(VALU_DEP_1) | instskip(NEXT) | instid1(VALU_DEP_1)
	v_and_b32_e32 v32, 0xffff, v14
	v_mov_b32_dpp v32, v32 row_shr:1 row_mask:0xf bank_mask:0xf
	s_delay_alu instid0(VALU_DEP_1) | instskip(NEXT) | instid1(VALU_DEP_1)
	v_mul_f16_e32 v32, v14, v32
	v_cndmask_b32_e64 v14, v32, v14, s2
	v_cmp_lt_u32_e64 s2, 1, v34
	s_delay_alu instid0(VALU_DEP_2) | instskip(NEXT) | instid1(VALU_DEP_1)
	v_and_b32_e32 v32, 0xffff, v14
	v_mov_b32_dpp v32, v32 row_shr:2 row_mask:0xf bank_mask:0xf
	s_delay_alu instid0(VALU_DEP_1) | instskip(NEXT) | instid1(VALU_DEP_1)
	v_mul_f16_e32 v32, v14, v32
	v_cndmask_b32_e64 v14, v14, v32, s2
	v_cmp_lt_u32_e64 s2, 3, v34
	s_delay_alu instid0(VALU_DEP_2) | instskip(NEXT) | instid1(VALU_DEP_1)
	v_and_b32_e32 v32, 0xffff, v14
	v_mov_b32_dpp v32, v32 row_shr:4 row_mask:0xf bank_mask:0xf
	s_delay_alu instid0(VALU_DEP_1) | instskip(NEXT) | instid1(VALU_DEP_1)
	v_mul_f16_e32 v32, v14, v32
	v_cndmask_b32_e64 v14, v14, v32, s2
	v_cmp_lt_u32_e64 s2, 7, v34
	v_and_b32_e32 v34, 16, v33
	s_delay_alu instid0(VALU_DEP_3) | instskip(NEXT) | instid1(VALU_DEP_1)
	v_and_b32_e32 v32, 0xffff, v14
	v_mov_b32_dpp v32, v32 row_shr:8 row_mask:0xf bank_mask:0xf
	s_delay_alu instid0(VALU_DEP_1) | instskip(NEXT) | instid1(VALU_DEP_1)
	v_mul_f16_e32 v32, v14, v32
	v_cndmask_b32_e64 v14, v14, v32, s2
	v_cmp_eq_u32_e64 s2, 0, v34
	s_delay_alu instid0(VALU_DEP_2) | instskip(SKIP_3) | instid1(VALU_DEP_1)
	v_and_b32_e32 v32, 0xffff, v14
	ds_swizzle_b32 v32, v32 offset:swizzle(BROADCAST,32,15)
	s_waitcnt lgkmcnt(0)
	v_mul_f16_e32 v32, v14, v32
	v_cndmask_b32_e64 v14, v32, v14, s2
	v_cmp_gt_i32_e64 s2, 0, v35
	s_delay_alu instid0(VALU_DEP_2) | instskip(NEXT) | instid1(VALU_DEP_2)
	v_and_b32_e32 v14, 0xffff, v14
	v_cndmask_b32_e64 v32, v35, v33, s2
	v_cmp_eq_u32_e64 s2, 0, v0
	s_delay_alu instid0(VALU_DEP_2) | instskip(SKIP_3) | instid1(VALU_DEP_1)
	v_lshlrev_b32_e32 v32, 2, v32
	ds_bpermute_b32 v14, v32, v14
	s_waitcnt lgkmcnt(0)
	v_mul_f16_e32 v12, v12, v14
	v_cndmask_b32_e64 v12, v12, v31, s2
	s_delay_alu instid0(VALU_DEP_1)
	v_mul_f16_e32 v13, v13, v12
	ds_store_b16 v11, v12
	ds_store_b16 v11, v13 offset:2
.LBB84_51:
	s_or_b32 exec_lo, exec_lo, s3
	v_cmp_eq_u32_e64 s2, 0, v0
	s_mov_b32 s4, exec_lo
	s_waitcnt lgkmcnt(0)
	s_barrier
	buffer_gl0_inv
	v_cmpx_ne_u32_e32 0, v0
	s_cbranch_execz .LBB84_53
; %bb.52:
	v_add_nc_u32_e32 v11, -1, v0
	s_delay_alu instid0(VALU_DEP_1) | instskip(NEXT) | instid1(VALU_DEP_1)
	v_lshrrev_b32_e32 v12, 5, v11
	v_add_lshl_u32 v11, v12, v11, 1
	ds_load_u16 v31, v11
.LBB84_53:
	s_or_b32 exec_lo, exec_lo, s4
	s_and_saveexec_b32 s7, vcc_lo
	s_cbranch_execz .LBB84_76
; %bb.54:
	v_mov_b32_e32 v13, 0
	v_mbcnt_lo_u32_b32 v44, -1, 0
	s_mov_b32 s5, 0
	ds_load_u16 v32, v13 offset:128
	v_cmp_eq_u32_e64 s3, 0, v44
	s_delay_alu instid0(VALU_DEP_1)
	s_and_saveexec_b32 s6, s3
	s_cbranch_execz .LBB84_56
; %bb.55:
	s_add_i32 s4, s15, 32
	s_waitcnt lgkmcnt(0)
	v_or_b32_e32 v11, 0x10000, v32
	s_lshl_b64 s[4:5], s[4:5], 2
	s_delay_alu instid0(SALU_CYCLE_1)
	s_add_u32 s4, s8, s4
	s_addc_u32 s5, s9, s5
	global_store_b32 v13, v11, s[4:5]
.LBB84_56:
	s_or_b32 exec_lo, exec_lo, s6
	v_xad_u32 v11, v44, -1, s15
	s_mov_b32 s4, exec_lo
	s_delay_alu instid0(VALU_DEP_1) | instskip(NEXT) | instid1(VALU_DEP_1)
	v_add_nc_u32_e32 v12, 32, v11
	v_lshlrev_b64 v[12:13], 2, v[12:13]
	s_delay_alu instid0(VALU_DEP_1) | instskip(NEXT) | instid1(VALU_DEP_2)
	v_add_co_u32 v12, vcc_lo, s8, v12
	v_add_co_ci_u32_e32 v13, vcc_lo, s9, v13, vcc_lo
	global_load_b32 v14, v[12:13], off glc
	s_waitcnt vmcnt(0)
	v_lshrrev_b32_e32 v33, 16, v14
	s_delay_alu instid0(VALU_DEP_1) | instskip(NEXT) | instid1(VALU_DEP_1)
	v_and_b32_e32 v34, 0xff, v33
	v_cmpx_eq_u16_e32 0, v34
	s_cbranch_execz .LBB84_60
; %bb.57:
	s_mov_b32 s5, 0
.LBB84_58:                              ; =>This Inner Loop Header: Depth=1
	global_load_b32 v14, v[12:13], off glc
	s_waitcnt vmcnt(0)
	v_lshrrev_b32_e32 v33, 16, v14
	s_delay_alu instid0(VALU_DEP_1) | instskip(NEXT) | instid1(VALU_DEP_1)
	v_and_b32_e32 v34, 0xff, v33
	v_cmp_ne_u16_e32 vcc_lo, 0, v34
	s_or_b32 s5, vcc_lo, s5
	s_delay_alu instid0(SALU_CYCLE_1)
	s_and_not1_b32 exec_lo, exec_lo, s5
	s_cbranch_execnz .LBB84_58
; %bb.59:
	s_or_b32 exec_lo, exec_lo, s5
.LBB84_60:
	s_delay_alu instid0(SALU_CYCLE_1)
	s_or_b32 exec_lo, exec_lo, s4
	v_cmp_ne_u32_e32 vcc_lo, 31, v44
	v_and_b32_e32 v13, 0xffff, v14
	v_and_b32_e32 v36, 0xff, v33
	v_lshlrev_b32_e64 v35, v44, -1
	v_cmp_gt_u32_e64 s4, 30, v44
	v_add_co_ci_u32_e32 v12, vcc_lo, 0, v44, vcc_lo
	s_delay_alu instid0(VALU_DEP_4) | instskip(SKIP_1) | instid1(VALU_DEP_4)
	v_cmp_eq_u16_e32 vcc_lo, 2, v36
	v_add_nc_u32_e32 v36, 1, v44
	v_cndmask_b32_e64 v37, 0, 1, s4
	s_delay_alu instid0(VALU_DEP_4)
	v_lshlrev_b32_e32 v34, 2, v12
	v_cmp_gt_u32_e64 s4, 24, v44
	v_and_or_b32 v38, vcc_lo, v35, 0x80000000
	v_cmp_gt_u32_e32 vcc_lo, 28, v44
	v_cmp_gt_u32_e64 s5, 16, v44
	ds_bpermute_b32 v12, v34, v13
	v_ctz_i32_b32_e32 v49, v38
	s_delay_alu instid0(VALU_DEP_1) | instskip(SKIP_2) | instid1(VALU_DEP_1)
	v_cmp_le_u32_e64 s6, v36, v49
	s_waitcnt lgkmcnt(0)
	v_mul_f16_e32 v12, v14, v12
	v_and_b32_e32 v38, 0xffff, v12
	s_delay_alu instid0(VALU_DEP_3) | instskip(NEXT) | instid1(VALU_DEP_2)
	v_cndmask_b32_e64 v41, v14, v12, s6
	v_cndmask_b32_e64 v40, v13, v38, s6
	v_cndmask_b32_e64 v38, 0, 1, vcc_lo
	s_delay_alu instid0(VALU_DEP_1) | instskip(SKIP_1) | instid1(VALU_DEP_2)
	v_lshlrev_b32_e32 v39, 2, v38
	v_add_nc_u32_e32 v38, 2, v44
	v_add_lshl_u32 v39, v39, v44, 2
	s_delay_alu instid0(VALU_DEP_2) | instskip(SKIP_2) | instid1(VALU_DEP_1)
	v_cmp_le_u32_e32 vcc_lo, v38, v49
	v_lshlrev_b32_e32 v37, 1, v37
	s_or_b32 s18, s6, vcc_lo
	v_add_lshl_u32 v37, v37, v44, 2
	ds_bpermute_b32 v13, v37, v40
	s_waitcnt lgkmcnt(0)
	v_mul_f16_e32 v13, v13, v41
	s_delay_alu instid0(VALU_DEP_1) | instskip(SKIP_2) | instid1(VALU_DEP_1)
	v_and_b32_e32 v42, 0xffff, v13
	v_cndmask_b32_e32 v43, v41, v13, vcc_lo
	v_cndmask_b32_e64 v41, 0, 1, s4
	v_dual_cndmask_b32 v42, v40, v42 :: v_dual_lshlrev_b32 v41, 3, v41
	ds_bpermute_b32 v40, v39, v42
	v_add_lshl_u32 v41, v41, v44, 2
	s_waitcnt lgkmcnt(0)
	v_mul_f16_e32 v45, v40, v43
	v_add_nc_u32_e32 v40, 4, v44
	s_delay_alu instid0(VALU_DEP_2) | instskip(NEXT) | instid1(VALU_DEP_2)
	v_and_b32_e32 v46, 0xffff, v45
	v_cmp_le_u32_e64 s4, v40, v49
	s_delay_alu instid0(VALU_DEP_1)
	v_cndmask_b32_e64 v48, v42, v46, s4
	v_cndmask_b32_e64 v46, v43, v45, s4
	;; [unrolled: 1-line block ×3, first 2 shown]
	s_or_b32 s18, s4, s18
	ds_bpermute_b32 v42, v41, v48
	v_lshlrev_b32_e32 v43, 4, v43
	s_delay_alu instid0(VALU_DEP_1) | instskip(SKIP_4) | instid1(VALU_DEP_3)
	v_add_lshl_u32 v43, v43, v44, 2
	s_waitcnt lgkmcnt(0)
	v_mul_f16_e32 v47, v42, v46
	v_add_nc_u32_e32 v42, 8, v44
	v_add_nc_u32_e32 v44, 16, v44
	v_and_b32_e32 v50, 0xffff, v47
	s_delay_alu instid0(VALU_DEP_3) | instskip(NEXT) | instid1(VALU_DEP_3)
	v_cmp_le_u32_e64 s5, v42, v49
	v_cmp_le_u32_e64 s6, v44, v49
	s_delay_alu instid0(VALU_DEP_2)
	v_cndmask_b32_e64 v48, v48, v50, s5
	s_or_b32 s18, s5, s18
	s_delay_alu instid0(VALU_DEP_2) | instid1(SALU_CYCLE_1)
	s_or_b32 s19, s6, s18
	ds_bpermute_b32 v48, v43, v48
	s_and_saveexec_b32 s18, s19
	s_cbranch_execz .LBB84_62
; %bb.61:
	v_cndmask_b32_e32 v12, v12, v13, vcc_lo
	v_cndmask_b32_e64 v13, v46, v47, s5
	s_delay_alu instid0(VALU_DEP_2) | instskip(SKIP_1) | instid1(VALU_DEP_2)
	v_cndmask_b32_e64 v12, v12, v45, s4
	s_waitcnt lgkmcnt(0)
	v_mul_f16_e32 v13, v48, v13
	s_delay_alu instid0(VALU_DEP_2) | instskip(NEXT) | instid1(VALU_DEP_1)
	v_cndmask_b32_e64 v12, v12, v47, s5
	v_cndmask_b32_e64 v14, v12, v13, s6
.LBB84_62:
	s_or_b32 exec_lo, exec_lo, s18
	v_mov_b32_e32 v12, 0
	s_branch .LBB84_64
.LBB84_63:                              ;   in Loop: Header=BB84_64 Depth=1
                                        ; implicit-def: $vgpr14
                                        ; implicit-def: $vgpr33
	s_cbranch_execnz .LBB84_72
.LBB84_64:                              ; =>This Loop Header: Depth=1
                                        ;     Child Loop BB84_67 Depth 2
	v_and_b32_e32 v13, 0xff, v33
	s_delay_alu instid0(VALU_DEP_2) | instskip(NEXT) | instid1(VALU_DEP_2)
	v_mov_b32_e32 v45, v14
	v_cmp_ne_u16_e32 vcc_lo, 2, v13
	v_cndmask_b32_e64 v13, 0, 1, vcc_lo
	;;#ASMSTART
	;;#ASMEND
	s_delay_alu instid0(VALU_DEP_1)
	v_cmp_ne_u32_e32 vcc_lo, 0, v13
	s_cmp_lg_u32 vcc_lo, exec_lo
	s_cbranch_scc1 .LBB84_63
; %bb.65:                               ;   in Loop: Header=BB84_64 Depth=1
	v_lshlrev_b64 v[13:14], 2, v[11:12]
	s_mov_b32 s4, exec_lo
	s_delay_alu instid0(VALU_DEP_1) | instskip(NEXT) | instid1(VALU_DEP_2)
	v_add_co_u32 v13, vcc_lo, s8, v13
	v_add_co_ci_u32_e32 v14, vcc_lo, s9, v14, vcc_lo
	global_load_b32 v46, v[13:14], off glc
	s_waitcnt vmcnt(0)
	v_lshrrev_b32_e32 v33, 16, v46
	s_delay_alu instid0(VALU_DEP_1) | instskip(NEXT) | instid1(VALU_DEP_1)
	v_and_b32_e32 v47, 0xff, v33
	v_cmpx_eq_u16_e32 0, v47
	s_cbranch_execz .LBB84_69
; %bb.66:                               ;   in Loop: Header=BB84_64 Depth=1
	s_mov_b32 s5, 0
.LBB84_67:                              ;   Parent Loop BB84_64 Depth=1
                                        ; =>  This Inner Loop Header: Depth=2
	global_load_b32 v46, v[13:14], off glc
	s_waitcnt vmcnt(0)
	v_lshrrev_b32_e32 v33, 16, v46
	s_delay_alu instid0(VALU_DEP_1) | instskip(NEXT) | instid1(VALU_DEP_1)
	v_and_b32_e32 v47, 0xff, v33
	v_cmp_ne_u16_e32 vcc_lo, 0, v47
	s_or_b32 s5, vcc_lo, s5
	s_delay_alu instid0(SALU_CYCLE_1)
	s_and_not1_b32 exec_lo, exec_lo, s5
	s_cbranch_execnz .LBB84_67
; %bb.68:                               ;   in Loop: Header=BB84_64 Depth=1
	s_or_b32 exec_lo, exec_lo, s5
.LBB84_69:                              ;   in Loop: Header=BB84_64 Depth=1
	s_delay_alu instid0(SALU_CYCLE_1) | instskip(SKIP_1) | instid1(VALU_DEP_1)
	s_or_b32 exec_lo, exec_lo, s4
	v_and_b32_e32 v47, 0xff, v33
	v_cmp_eq_u16_e32 vcc_lo, 2, v47
	v_and_or_b32 v47, vcc_lo, v35, 0x80000000
	s_delay_alu instid0(VALU_DEP_1) | instskip(NEXT) | instid1(VALU_DEP_1)
	v_ctz_i32_b32_e32 v51, v47
	v_cmp_le_u32_e32 vcc_lo, v38, v51
	v_and_b32_e32 v14, 0xffff, v46
	v_cmp_le_u32_e64 s6, v36, v51
	v_cmp_le_u32_e64 s4, v40, v51
	;; [unrolled: 1-line block ×3, first 2 shown]
	ds_bpermute_b32 v13, v34, v14
	s_or_b32 s18, s6, vcc_lo
	s_delay_alu instid0(SALU_CYCLE_1) | instskip(NEXT) | instid1(SALU_CYCLE_1)
	s_or_b32 s18, s4, s18
	s_or_b32 s18, s5, s18
	s_waitcnt lgkmcnt(0)
	v_mul_f16_e32 v13, v46, v13
	s_delay_alu instid0(VALU_DEP_1) | instskip(SKIP_1) | instid1(VALU_DEP_2)
	v_and_b32_e32 v47, 0xffff, v13
	v_cndmask_b32_e64 v48, v46, v13, s6
	v_cndmask_b32_e64 v47, v14, v47, s6
	v_cmp_le_u32_e64 s6, v44, v51
	ds_bpermute_b32 v14, v37, v47
	s_or_b32 s19, s6, s18
	s_waitcnt lgkmcnt(0)
	v_mul_f16_e32 v14, v14, v48
	s_delay_alu instid0(VALU_DEP_1) | instskip(NEXT) | instid1(VALU_DEP_1)
	v_and_b32_e32 v49, 0xffff, v14
	v_dual_cndmask_b32 v48, v48, v14 :: v_dual_cndmask_b32 v49, v47, v49
	ds_bpermute_b32 v47, v39, v49
	s_waitcnt lgkmcnt(0)
	v_mul_f16_e32 v47, v47, v48
	s_delay_alu instid0(VALU_DEP_1) | instskip(SKIP_1) | instid1(VALU_DEP_2)
	v_and_b32_e32 v50, 0xffff, v47
	v_cndmask_b32_e64 v48, v48, v47, s4
	v_cndmask_b32_e64 v50, v49, v50, s4
	ds_bpermute_b32 v49, v41, v50
	s_waitcnt lgkmcnt(0)
	v_mul_f16_e32 v49, v49, v48
	s_delay_alu instid0(VALU_DEP_1) | instskip(NEXT) | instid1(VALU_DEP_1)
	v_and_b32_e32 v52, 0xffff, v49
	v_cndmask_b32_e64 v50, v50, v52, s5
	ds_bpermute_b32 v50, v43, v50
	s_and_saveexec_b32 s18, s19
	s_cbranch_execz .LBB84_71
; %bb.70:                               ;   in Loop: Header=BB84_64 Depth=1
	v_cndmask_b32_e32 v13, v13, v14, vcc_lo
	v_cndmask_b32_e64 v14, v48, v49, s5
	s_delay_alu instid0(VALU_DEP_2) | instskip(SKIP_1) | instid1(VALU_DEP_2)
	v_cndmask_b32_e64 v13, v13, v47, s4
	s_waitcnt lgkmcnt(0)
	v_mul_f16_e32 v14, v50, v14
	s_delay_alu instid0(VALU_DEP_2) | instskip(NEXT) | instid1(VALU_DEP_1)
	v_cndmask_b32_e64 v13, v13, v49, s5
	v_cndmask_b32_e64 v46, v13, v14, s6
.LBB84_71:                              ;   in Loop: Header=BB84_64 Depth=1
	s_or_b32 exec_lo, exec_lo, s18
	v_subrev_nc_u32_e32 v11, 32, v11
	s_delay_alu instid0(VALU_DEP_2)
	v_mul_f16_e32 v14, v46, v45
	s_branch .LBB84_64
.LBB84_72:
	s_and_saveexec_b32 s4, s3
	s_cbranch_execz .LBB84_74
; %bb.73:
	v_mul_f16_e32 v11, v32, v45
	s_add_i32 s18, s15, 32
	s_mov_b32 s19, 0
	v_mov_b32_e32 v12, 0
	s_lshl_b64 s[18:19], s[18:19], 2
	v_and_b32_e32 v11, 0xffff, v11
	s_add_u32 s18, s8, s18
	s_addc_u32 s19, s9, s19
	s_delay_alu instid0(VALU_DEP_1)
	v_or_b32_e32 v11, 0x20000, v11
	global_store_b32 v12, v11, s[18:19]
.LBB84_74:
	s_or_b32 exec_lo, exec_lo, s4
	s_delay_alu instid0(SALU_CYCLE_1)
	s_and_b32 exec_lo, exec_lo, s2
	s_cbranch_execz .LBB84_76
; %bb.75:
	v_mov_b32_e32 v11, 0
	ds_store_b16 v11, v45
.LBB84_76:
	s_or_b32 exec_lo, exec_lo, s7
	v_mov_b32_e32 v11, 0
	s_waitcnt lgkmcnt(0)
	s_waitcnt_vscnt null, 0x0
	s_barrier
	buffer_gl0_inv
	v_mul_f16_e32 v12, v31, v1
	ds_load_u16 v11, v11
	v_cndmask_b32_e64 v12, v12, v1, s2
	s_waitcnt lgkmcnt(0)
	s_delay_alu instid0(VALU_DEP_1) | instskip(NEXT) | instid1(VALU_DEP_1)
	v_mul_f16_e32 v12, v12, v11
	v_mul_f16_e32 v11, v12, v29
	s_delay_alu instid0(VALU_DEP_1) | instskip(NEXT) | instid1(VALU_DEP_1)
	v_mul_f16_e32 v13, v11, v2
	v_mul_f16_e32 v14, v13, v28
	;; [unrolled: 3-line block ×11, first 2 shown]
	s_load_b128 s[4:7], s[0:1], 0x30
	s_branch .LBB84_87
.LBB84_77:
                                        ; implicit-def: $vgpr12
                                        ; implicit-def: $vgpr11
                                        ; implicit-def: $vgpr13
                                        ; implicit-def: $vgpr14
                                        ; implicit-def: $vgpr31
                                        ; implicit-def: $vgpr32
                                        ; implicit-def: $vgpr33
                                        ; implicit-def: $vgpr34
                                        ; implicit-def: $vgpr35
                                        ; implicit-def: $vgpr36
                                        ; implicit-def: $vgpr37
                                        ; implicit-def: $vgpr38
                                        ; implicit-def: $vgpr39
                                        ; implicit-def: $vgpr40
                                        ; implicit-def: $vgpr41
                                        ; implicit-def: $vgpr42
                                        ; implicit-def: $vgpr43
                                        ; implicit-def: $vgpr44
                                        ; implicit-def: $vgpr45
                                        ; implicit-def: $vgpr46
                                        ; implicit-def: $vgpr47
                                        ; implicit-def: $vgpr48
	s_load_b128 s[4:7], s[0:1], 0x30
	s_cbranch_execz .LBB84_87
; %bb.78:
	s_load_b32 s2, s[0:1], 0x40
	v_cmp_eq_u32_e32 vcc_lo, 0, v0
	s_waitcnt lgkmcnt(0)
	s_bitcmp1_b32 s2, 0
	v_cmp_ne_u32_e64 s2, 0, v0
	s_cselect_b32 s3, -1, 0
	s_delay_alu instid0(SALU_CYCLE_1) | instskip(NEXT) | instid1(SALU_CYCLE_1)
	s_and_b32 s15, vcc_lo, s3
	s_and_saveexec_b32 s3, s15
	s_cbranch_execz .LBB84_80
; %bb.79:
	v_mov_b32_e32 v11, 0
	global_load_u16 v11, v11, s[4:5]
	s_waitcnt vmcnt(0)
	v_mul_f16_e32 v1, v11, v1
.LBB84_80:
	s_or_b32 exec_lo, exec_lo, s3
	s_delay_alu instid0(VALU_DEP_1) | instskip(SKIP_2) | instid1(VALU_DEP_2)
	v_mul_f16_e32 v11, v29, v1
	v_add_lshl_u32 v12, v30, v0, 1
	s_mov_b32 s4, exec_lo
	v_mul_f16_e32 v11, v11, v2
	s_delay_alu instid0(VALU_DEP_1) | instskip(NEXT) | instid1(VALU_DEP_1)
	v_mul_f16_e32 v11, v11, v28
	v_mul_f16_e32 v11, v11, v9
	s_delay_alu instid0(VALU_DEP_1) | instskip(NEXT) | instid1(VALU_DEP_1)
	v_mul_f16_e32 v11, v11, v27
	;; [unrolled: 3-line block ×9, first 2 shown]
	v_mul_f16_e32 v11, v11, v18
	s_delay_alu instid0(VALU_DEP_1)
	v_mul_f16_e32 v11, v11, v19
	ds_store_b16 v12, v11
	s_waitcnt lgkmcnt(0)
	s_barrier
	buffer_gl0_inv
	v_cmpx_gt_u32_e32 32, v0
	s_cbranch_execz .LBB84_82
; %bb.81:
	v_lshrrev_b32_e32 v12, 3, v0
	v_mbcnt_lo_u32_b32 v32, -1, 0
	s_delay_alu instid0(VALU_DEP_2) | instskip(NEXT) | instid1(VALU_DEP_2)
	v_and_b32_e32 v12, 6, v12
	v_and_b32_e32 v33, 15, v32
	v_add_nc_u32_e32 v34, -1, v32
	s_delay_alu instid0(VALU_DEP_3) | instskip(NEXT) | instid1(VALU_DEP_3)
	v_lshl_or_b32 v12, v0, 2, v12
	v_cmp_eq_u32_e64 s3, 0, v33
	ds_load_u16 v13, v12
	ds_load_u16 v14, v12 offset:2
	s_waitcnt lgkmcnt(0)
	v_mul_f16_e32 v30, v13, v14
	s_delay_alu instid0(VALU_DEP_1) | instskip(NEXT) | instid1(VALU_DEP_1)
	v_and_b32_e32 v31, 0xffff, v30
	v_mov_b32_dpp v31, v31 row_shr:1 row_mask:0xf bank_mask:0xf
	s_delay_alu instid0(VALU_DEP_1) | instskip(NEXT) | instid1(VALU_DEP_1)
	v_mul_f16_e32 v31, v30, v31
	v_cndmask_b32_e64 v30, v31, v30, s3
	v_cmp_lt_u32_e64 s3, 1, v33
	s_delay_alu instid0(VALU_DEP_2) | instskip(NEXT) | instid1(VALU_DEP_1)
	v_and_b32_e32 v31, 0xffff, v30
	v_mov_b32_dpp v31, v31 row_shr:2 row_mask:0xf bank_mask:0xf
	s_delay_alu instid0(VALU_DEP_1) | instskip(NEXT) | instid1(VALU_DEP_1)
	v_mul_f16_e32 v31, v30, v31
	v_cndmask_b32_e64 v30, v30, v31, s3
	v_cmp_lt_u32_e64 s3, 3, v33
	s_delay_alu instid0(VALU_DEP_2) | instskip(NEXT) | instid1(VALU_DEP_1)
	v_and_b32_e32 v31, 0xffff, v30
	v_mov_b32_dpp v31, v31 row_shr:4 row_mask:0xf bank_mask:0xf
	s_delay_alu instid0(VALU_DEP_1) | instskip(NEXT) | instid1(VALU_DEP_1)
	v_mul_f16_e32 v31, v30, v31
	v_cndmask_b32_e64 v30, v30, v31, s3
	v_cmp_lt_u32_e64 s3, 7, v33
	v_and_b32_e32 v33, 16, v32
	s_delay_alu instid0(VALU_DEP_3) | instskip(NEXT) | instid1(VALU_DEP_1)
	v_and_b32_e32 v31, 0xffff, v30
	v_mov_b32_dpp v31, v31 row_shr:8 row_mask:0xf bank_mask:0xf
	s_delay_alu instid0(VALU_DEP_1) | instskip(NEXT) | instid1(VALU_DEP_1)
	v_mul_f16_e32 v31, v30, v31
	v_cndmask_b32_e64 v30, v30, v31, s3
	v_cmp_eq_u32_e64 s3, 0, v33
	s_delay_alu instid0(VALU_DEP_2) | instskip(SKIP_3) | instid1(VALU_DEP_1)
	v_and_b32_e32 v31, 0xffff, v30
	ds_swizzle_b32 v31, v31 offset:swizzle(BROADCAST,32,15)
	s_waitcnt lgkmcnt(0)
	v_mul_f16_e32 v31, v30, v31
	v_cndmask_b32_e64 v30, v31, v30, s3
	v_cmp_gt_i32_e64 s3, 0, v34
	s_delay_alu instid0(VALU_DEP_2) | instskip(NEXT) | instid1(VALU_DEP_2)
	v_and_b32_e32 v30, 0xffff, v30
	v_cndmask_b32_e64 v31, v34, v32, s3
	s_delay_alu instid0(VALU_DEP_1) | instskip(SKIP_3) | instid1(VALU_DEP_1)
	v_lshlrev_b32_e32 v31, 2, v31
	ds_bpermute_b32 v30, v31, v30
	s_waitcnt lgkmcnt(0)
	v_mul_f16_e32 v13, v13, v30
	v_cndmask_b32_e32 v13, v13, v11, vcc_lo
	s_delay_alu instid0(VALU_DEP_1)
	v_mul_f16_e32 v14, v14, v13
	ds_store_b16 v12, v13
	ds_store_b16 v12, v14 offset:2
.LBB84_82:
	s_or_b32 exec_lo, exec_lo, s4
	s_waitcnt lgkmcnt(0)
	s_barrier
	buffer_gl0_inv
	s_and_saveexec_b32 s3, s2
	s_cbranch_execz .LBB84_84
; %bb.83:
	v_add_nc_u32_e32 v11, -1, v0
	s_delay_alu instid0(VALU_DEP_1) | instskip(NEXT) | instid1(VALU_DEP_1)
	v_lshrrev_b32_e32 v12, 5, v11
	v_add_lshl_u32 v11, v12, v11, 1
	ds_load_u16 v11, v11
.LBB84_84:
	s_or_b32 exec_lo, exec_lo, s3
	s_waitcnt lgkmcnt(0)
	v_mul_f16_e32 v12, v11, v1
	s_delay_alu instid0(VALU_DEP_1) | instskip(NEXT) | instid1(VALU_DEP_1)
	v_cndmask_b32_e32 v11, v12, v1, vcc_lo
	v_mul_f16_e32 v11, v11, v29
	s_delay_alu instid0(VALU_DEP_1) | instskip(NEXT) | instid1(VALU_DEP_1)
	v_mul_f16_e32 v13, v11, v2
	v_mul_f16_e32 v14, v13, v28
	s_delay_alu instid0(VALU_DEP_1) | instskip(NEXT) | instid1(VALU_DEP_1)
	v_mul_f16_e32 v31, v14, v9
	v_mul_f16_e32 v32, v31, v27
	s_delay_alu instid0(VALU_DEP_1) | instskip(NEXT) | instid1(VALU_DEP_1)
	v_mul_f16_e32 v33, v32, v10
	v_mul_f16_e32 v34, v33, v26
	s_delay_alu instid0(VALU_DEP_1) | instskip(NEXT) | instid1(VALU_DEP_1)
	v_mul_f16_e32 v35, v34, v7
	v_mul_f16_e32 v36, v35, v25
	s_delay_alu instid0(VALU_DEP_1) | instskip(NEXT) | instid1(VALU_DEP_1)
	v_mul_f16_e32 v37, v36, v8
	v_mul_f16_e32 v38, v37, v24
	s_delay_alu instid0(VALU_DEP_1) | instskip(NEXT) | instid1(VALU_DEP_1)
	v_mul_f16_e32 v39, v38, v5
	v_mul_f16_e32 v40, v39, v23
	s_delay_alu instid0(VALU_DEP_1) | instskip(NEXT) | instid1(VALU_DEP_1)
	v_mul_f16_e32 v41, v40, v6
	v_mul_f16_e32 v42, v41, v22
	s_delay_alu instid0(VALU_DEP_1) | instskip(NEXT) | instid1(VALU_DEP_1)
	v_mul_f16_e32 v43, v42, v3
	v_mul_f16_e32 v44, v43, v21
	s_delay_alu instid0(VALU_DEP_1) | instskip(NEXT) | instid1(VALU_DEP_1)
	v_mul_f16_e32 v45, v44, v4
	v_mul_f16_e32 v46, v45, v20
	s_delay_alu instid0(VALU_DEP_1)
	v_mul_f16_e32 v47, v46, v18
	s_and_saveexec_b32 s2, vcc_lo
	s_cbranch_execz .LBB84_86
; %bb.85:
	v_mov_b32_e32 v2, 0
	v_mov_b32_e32 v12, v1
	ds_load_u16 v3, v2 offset:128
	s_waitcnt lgkmcnt(0)
	v_or_b32_e32 v3, 0x20000, v3
	global_store_b32 v2, v3, s[8:9] offset:128
.LBB84_86:
	s_or_b32 exec_lo, exec_lo, s2
	s_delay_alu instid0(VALU_DEP_1)
	v_mul_f16_e32 v48, v47, v19
.LBB84_87:
	v_perm_b32 v4, v14, v13, 0x5040100
	v_perm_b32 v5, v11, v12, 0x5040100
	;; [unrolled: 1-line block ×11, first 2 shown]
	s_add_u32 s2, s10, s12
	s_addc_u32 s3, s11, s13
	s_and_b32 vcc_lo, exec_lo, s17
	s_waitcnt lgkmcnt(0)
	s_mov_b32 s4, -1
	s_waitcnt_vscnt null, 0x0
	s_barrier
	buffer_gl0_inv
	s_cbranch_vccz .LBB84_89
; %bb.88:
	ds_store_2addr_b32 v17, v5, v4 offset1:1
	ds_store_2addr_b32 v17, v7, v6 offset0:2 offset1:3
	ds_store_2addr_b32 v17, v9, v8 offset0:4 offset1:5
	;; [unrolled: 1-line block ×4, first 2 shown]
	ds_store_b32 v17, v3 offset:40
	s_waitcnt lgkmcnt(0)
	s_barrier
	buffer_gl0_inv
	ds_load_u16 v12, v15
	ds_load_u16 v13, v15 offset:128
	ds_load_u16 v14, v15 offset:256
	;; [unrolled: 1-line block ×21, first 2 shown]
	s_mov_b32 s4, 0
	s_waitcnt lgkmcnt(21)
	global_store_b16 v15, v12, s[2:3]
	s_waitcnt lgkmcnt(20)
	global_store_b16 v15, v13, s[2:3] offset:128
	s_waitcnt lgkmcnt(19)
	global_store_b16 v15, v14, s[2:3] offset:256
	;; [unrolled: 2-line block ×21, first 2 shown]
.LBB84_89:
	s_and_not1_b32 vcc_lo, exec_lo, s4
	s_cbranch_vccnz .LBB84_216
; %bb.90:
	v_mad_i32_i24 v27, 0xffffffd6, v0, v17
	ds_store_2addr_b32 v17, v5, v4 offset1:1
	ds_store_2addr_b32 v17, v7, v6 offset0:2 offset1:3
	ds_store_2addr_b32 v17, v9, v8 offset0:4 offset1:5
	;; [unrolled: 1-line block ×4, first 2 shown]
	ds_store_b32 v17, v3 offset:40
	s_waitcnt lgkmcnt(0)
	s_waitcnt_vscnt null, 0x0
	s_barrier
	buffer_gl0_inv
	ds_load_u16 v5, v27
	ds_load_u16 v4, v27 offset:128
	ds_load_u16 v7, v27 offset:256
	;; [unrolled: 1-line block ×21, first 2 shown]
	v_add_co_u32 v2, s2, s2, v15
	v_mov_b32_e32 v1, 0
	v_add_co_ci_u32_e64 v3, null, s3, 0, s2
	s_mov_b32 s2, exec_lo
	v_cmpx_gt_u32_e64 s14, v0
	s_cbranch_execz .LBB84_92
; %bb.91:
	s_waitcnt lgkmcnt(21)
	global_store_b16 v[2:3], v5, off
.LBB84_92:
	s_or_b32 exec_lo, exec_lo, s2
	v_or_b32_e32 v15, 64, v0
	s_mov_b32 s2, exec_lo
	s_delay_alu instid0(VALU_DEP_1)
	v_cmpx_gt_u32_e64 s14, v15
	s_cbranch_execz .LBB84_94
; %bb.93:
	s_waitcnt lgkmcnt(20)
	global_store_b16 v[2:3], v4, off offset:128
.LBB84_94:
	s_or_b32 exec_lo, exec_lo, s2
	v_or_b32_e32 v15, 0x80, v0
	s_mov_b32 s2, exec_lo
	s_delay_alu instid0(VALU_DEP_1)
	v_cmpx_gt_u32_e64 s14, v15
	s_cbranch_execz .LBB84_96
; %bb.95:
	s_waitcnt lgkmcnt(19)
	global_store_b16 v[2:3], v7, off offset:256
.LBB84_96:
	;; [unrolled: 10-line block ×21, first 2 shown]
	s_or_b32 exec_lo, exec_lo, s2
	s_load_b32 s0, s[0:1], 0x40
	s_waitcnt lgkmcnt(0)
	s_bfe_u32 s0, s0, 0x10008
	s_delay_alu instid0(SALU_CYCLE_1)
	s_cmp_eq_u32 s0, 0
	s_cbranch_scc1 .LBB84_216
; %bb.135:
	s_add_u32 s0, s14, -1
	s_addc_u32 s1, s16, -1
	s_add_u32 s2, 0, 0x2e8b0a00
	s_addc_u32 s3, 0, 42
	s_mul_hi_u32 s5, s2, 0xffffffea
	s_add_i32 s3, s3, 0xba2e890
	s_sub_i32 s5, s5, s2
	s_mul_i32 s8, s3, 0xffffffea
	s_mul_i32 s4, s2, 0xffffffea
	s_add_i32 s5, s5, s8
	s_mul_hi_u32 s9, s3, s4
	s_mul_i32 s8, s3, s4
	s_mul_i32 s10, s2, s5
	s_mul_hi_u32 s4, s2, s4
	s_mul_hi_u32 s11, s2, s5
	s_add_u32 s4, s4, s10
	s_addc_u32 s10, 0, s11
	s_mul_hi_u32 s11, s3, s5
	s_add_u32 s4, s4, s8
	s_addc_u32 s4, s10, s9
	s_mul_i32 s5, s3, s5
	s_addc_u32 s8, s11, 0
	s_add_u32 s4, s4, s5
	s_delay_alu instid0(SALU_CYCLE_1) | instskip(SKIP_2) | instid1(VALU_DEP_1)
	v_add_co_u32 v2, s2, s2, s4
	s_addc_u32 s4, 0, s8
	s_cmp_lg_u32 s2, 0
	v_readfirstlane_b32 s2, v2
	s_addc_u32 s3, s3, s4
	s_delay_alu instid0(SALU_CYCLE_1) | instskip(SKIP_1) | instid1(VALU_DEP_1)
	s_mul_i32 s4, s0, s3
	s_mul_hi_u32 s8, s0, s3
	s_mul_hi_u32 s5, s0, s2
	s_mul_i32 s9, s1, s2
	s_add_u32 s4, s5, s4
	s_addc_u32 s5, 0, s8
	s_mul_hi_u32 s2, s1, s2
	s_mul_hi_u32 s8, s1, s3
	s_add_u32 s4, s4, s9
	s_addc_u32 s2, s5, s2
	s_mul_i32 s3, s1, s3
	s_addc_u32 s4, s8, 0
	s_add_u32 s2, s2, s3
	s_addc_u32 s3, 0, s4
	s_mul_i32 s5, s2, 22
	s_add_u32 s4, s2, 1
	v_sub_co_u32 v2, s5, s0, s5
	s_addc_u32 s8, s3, 0
	s_mul_i32 s10, s3, 22
	s_mul_hi_u32 s12, s2, 22
	s_delay_alu instid0(VALU_DEP_1)
	v_sub_co_u32 v3, s11, v2, 22
	s_add_u32 s9, s2, 2
	s_addc_u32 s13, s3, 0
	s_add_i32 s12, s12, s10
	s_cmp_lg_u32 s5, 0
	v_readfirstlane_b32 s5, v3
	s_subb_u32 s10, s1, s12
	s_cmp_lg_u32 s11, 0
	s_subb_u32 s11, s10, 0
	s_delay_alu instid0(VALU_DEP_1) | instskip(SKIP_4) | instid1(SALU_CYCLE_1)
	s_cmp_gt_u32 s5, 21
	s_cselect_b32 s5, -1, 0
	s_cmp_eq_u32 s11, 0
	v_readfirstlane_b32 s11, v2
	s_cselect_b32 s5, s5, -1
	s_cmp_lg_u32 s5, 0
	s_cselect_b32 s4, s9, s4
	s_cselect_b32 s5, s13, s8
	s_cmp_gt_u32 s11, 21
	s_cselect_b32 s8, -1, 0
	s_cmp_eq_u32 s10, 0
	s_cselect_b32 s8, s8, -1
	s_delay_alu instid0(SALU_CYCLE_1) | instskip(SKIP_2) | instid1(SALU_CYCLE_1)
	s_cmp_lg_u32 s8, 0
	s_cselect_b32 s3, s5, s3
	s_cselect_b32 s2, s4, s2
	v_cmp_eq_u64_e32 vcc_lo, s[2:3], v[0:1]
	s_and_saveexec_b32 s2, vcc_lo
	s_cbranch_execz .LBB84_216
; %bb.136:
	v_mul_hi_u32_u24_e32 v1, 22, v0
	v_sub_co_u32 v0, vcc_lo, s0, v16
	s_mov_b32 s0, 0
	s_mov_b32 s2, 0
	s_delay_alu instid0(VALU_DEP_2) | instskip(SKIP_1) | instid1(VALU_DEP_1)
	v_sub_co_ci_u32_e32 v1, vcc_lo, s1, v1, vcc_lo
	s_mov_b32 s1, exec_lo
	v_cmpx_lt_i64_e32 10, v[0:1]
	s_xor_b32 s1, exec_lo, s1
	s_cbranch_execnz .LBB84_140
; %bb.137:
	s_or_saveexec_b32 s1, s1
	s_mov_b32 s3, 0
	s_xor_b32 exec_lo, exec_lo, s1
	s_cbranch_execnz .LBB84_181
.LBB84_138:
	s_or_b32 exec_lo, exec_lo, s1
	s_and_saveexec_b32 s1, s2
	s_cbranch_execnz .LBB84_192
.LBB84_139:
	s_or_b32 exec_lo, exec_lo, s1
	s_and_saveexec_b32 s1, s0
	s_cbranch_execnz .LBB84_193
	s_branch .LBB84_197
.LBB84_140:
	s_mov_b32 s3, 0
	s_mov_b32 s2, exec_lo
	v_cmpx_lt_i64_e32 15, v[0:1]
	s_xor_b32 s2, exec_lo, s2
	s_cbranch_execz .LBB84_162
; %bb.141:
	s_mov_b32 s4, exec_lo
                                        ; implicit-def: $vgpr12
	v_cmpx_lt_i64_e32 18, v[0:1]
	s_xor_b32 s4, exec_lo, s4
	s_cbranch_execz .LBB84_151
; %bb.142:
	s_mov_b32 s5, 0
	s_mov_b32 s3, exec_lo
                                        ; implicit-def: $vgpr12
	v_cmpx_lt_i64_e32 19, v[0:1]
	s_xor_b32 s3, exec_lo, s3
	s_cbranch_execz .LBB84_148
; %bb.143:
	s_mov_b32 s5, exec_lo
	v_cmpx_lt_i64_e32 20, v[0:1]
	s_xor_b32 s5, exec_lo, s5
	s_cbranch_execz .LBB84_145
; %bb.144:
	v_mov_b32_e32 v2, 0
                                        ; implicit-def: $vgpr21
	global_store_b16 v2, v27, s[6:7]
.LBB84_145:
	s_or_saveexec_b32 s5, s5
	s_mov_b32 s8, 0
	s_xor_b32 exec_lo, exec_lo, s5
; %bb.146:
	s_delay_alu instid0(SALU_CYCLE_1)
	s_mov_b32 s8, exec_lo
; %bb.147:
	s_or_b32 exec_lo, exec_lo, s5
	v_mov_b32_e32 v12, v21
	s_and_b32 s5, s8, exec_lo
                                        ; implicit-def: $vgpr26
.LBB84_148:
	s_and_not1_saveexec_b32 s3, s3
	s_cbranch_execz .LBB84_150
; %bb.149:
	v_mov_b32_e32 v2, 0
                                        ; implicit-def: $vgpr12
	global_store_b16 v2, v26, s[6:7]
.LBB84_150:
	s_or_b32 exec_lo, exec_lo, s3
	s_delay_alu instid0(SALU_CYCLE_1)
	s_and_b32 s3, s5, exec_lo
                                        ; implicit-def: $vgpr23
                                        ; implicit-def: $vgpr20
                                        ; implicit-def: $vgpr25
.LBB84_151:
	s_and_not1_saveexec_b32 s4, s4
	s_cbranch_execz .LBB84_161
; %bb.152:
	s_mov_b32 s5, exec_lo
	v_cmpx_lt_i64_e32 16, v[0:1]
	s_xor_b32 s5, exec_lo, s5
	s_cbranch_execz .LBB84_158
; %bb.153:
	s_mov_b32 s8, exec_lo
	v_cmpx_lt_i64_e32 17, v[0:1]
	s_xor_b32 s8, exec_lo, s8
	s_cbranch_execz .LBB84_155
; %bb.154:
	v_mov_b32_e32 v2, 0
                                        ; implicit-def: $vgpr20
	global_store_b16 v2, v25, s[6:7]
.LBB84_155:
	s_and_not1_saveexec_b32 s8, s8
	s_cbranch_execz .LBB84_157
; %bb.156:
	v_mov_b32_e32 v2, 0
	global_store_b16 v2, v20, s[6:7]
.LBB84_157:
	s_or_b32 exec_lo, exec_lo, s8
                                        ; implicit-def: $vgpr23
.LBB84_158:
	s_and_not1_saveexec_b32 s5, s5
	s_cbranch_execz .LBB84_160
; %bb.159:
	v_mov_b32_e32 v2, 0
	global_store_b16 v2, v23, s[6:7]
.LBB84_160:
	s_or_b32 exec_lo, exec_lo, s5
                                        ; implicit-def: $vgpr12
.LBB84_161:
	s_delay_alu instid0(SALU_CYCLE_1) | instskip(NEXT) | instid1(SALU_CYCLE_1)
	s_or_b32 exec_lo, exec_lo, s4
	s_and_b32 s3, s3, exec_lo
                                        ; implicit-def: $vgpr22
                                        ; implicit-def: $vgpr19
                                        ; implicit-def: $vgpr18
                                        ; implicit-def: $vgpr24
.LBB84_162:
	s_and_not1_saveexec_b32 s2, s2
	s_cbranch_execz .LBB84_180
; %bb.163:
	s_mov_b32 s4, exec_lo
	v_cmpx_lt_i64_e32 12, v[0:1]
	s_xor_b32 s4, exec_lo, s4
	s_cbranch_execz .LBB84_173
; %bb.164:
	s_mov_b32 s5, exec_lo
	v_cmpx_lt_i64_e32 13, v[0:1]
	s_xor_b32 s5, exec_lo, s5
	;; [unrolled: 5-line block ×3, first 2 shown]
	s_cbranch_execz .LBB84_167
; %bb.166:
	v_mov_b32_e32 v2, 0
                                        ; implicit-def: $vgpr18
	global_store_b16 v2, v24, s[6:7]
.LBB84_167:
	s_and_not1_saveexec_b32 s8, s8
	s_cbranch_execz .LBB84_169
; %bb.168:
	v_mov_b32_e32 v2, 0
	global_store_b16 v2, v18, s[6:7]
.LBB84_169:
	s_or_b32 exec_lo, exec_lo, s8
                                        ; implicit-def: $vgpr22
.LBB84_170:
	s_and_not1_saveexec_b32 s5, s5
	s_cbranch_execz .LBB84_172
; %bb.171:
	v_mov_b32_e32 v2, 0
	global_store_b16 v2, v22, s[6:7]
.LBB84_172:
	s_or_b32 exec_lo, exec_lo, s5
                                        ; implicit-def: $vgpr12
                                        ; implicit-def: $vgpr19
.LBB84_173:
	s_or_saveexec_b32 s4, s4
	s_mov_b32 s5, s3
	s_xor_b32 exec_lo, exec_lo, s4
	s_cbranch_execz .LBB84_179
; %bb.174:
	s_mov_b32 s5, exec_lo
	v_cmpx_lt_i64_e32 11, v[0:1]
	s_xor_b32 s5, exec_lo, s5
	s_cbranch_execz .LBB84_176
; %bb.175:
	v_mov_b32_e32 v2, 0
                                        ; implicit-def: $vgpr12
	global_store_b16 v2, v19, s[6:7]
.LBB84_176:
	s_or_saveexec_b32 s5, s5
	s_mov_b32 s8, s3
	s_xor_b32 exec_lo, exec_lo, s5
; %bb.177:
	s_delay_alu instid0(SALU_CYCLE_1)
	s_or_b32 s8, s3, exec_lo
; %bb.178:
	s_or_b32 exec_lo, exec_lo, s5
	s_delay_alu instid0(SALU_CYCLE_1) | instskip(SKIP_1) | instid1(SALU_CYCLE_1)
	s_and_not1_b32 s5, s3, exec_lo
	s_and_b32 s8, s8, exec_lo
	s_or_b32 s5, s5, s8
.LBB84_179:
	s_or_b32 exec_lo, exec_lo, s4
	s_delay_alu instid0(SALU_CYCLE_1) | instskip(SKIP_1) | instid1(SALU_CYCLE_1)
	s_and_not1_b32 s3, s3, exec_lo
	s_and_b32 s4, s5, exec_lo
	s_or_b32 s3, s3, s4
.LBB84_180:
	s_or_b32 exec_lo, exec_lo, s2
	s_delay_alu instid0(SALU_CYCLE_1)
	s_and_b32 s2, s3, exec_lo
                                        ; implicit-def: $vgpr14
                                        ; implicit-def: $vgpr17
                                        ; implicit-def: $vgpr13
	s_or_saveexec_b32 s1, s1
	s_mov_b32 s3, 0
	s_xor_b32 exec_lo, exec_lo, s1
	s_cbranch_execz .LBB84_138
.LBB84_181:
	s_mov_b32 s4, 0
	s_mov_b32 s3, -1
	s_mov_b32 s5, s2
	s_mov_b32 s0, exec_lo
                                        ; implicit-def: $vgpr12
	v_cmpx_lt_i64_e32 5, v[0:1]
	s_cbranch_execz .LBB84_191
; %bb.182:
	s_mov_b32 s4, -1
	s_mov_b32 s5, s2
	s_mov_b32 s3, exec_lo
	v_cmpx_lt_i64_e32 7, v[0:1]
	s_cbranch_execz .LBB84_190
; %bb.183:
	s_mov_b32 s4, exec_lo
	v_cmpx_lt_i64_e32 8, v[0:1]
	s_cbranch_execz .LBB84_189
; %bb.184:
	s_mov_b32 s5, exec_lo
	v_cmpx_lt_i64_e32 9, v[0:1]
	s_xor_b32 s5, exec_lo, s5
; %bb.185:
                                        ; implicit-def: $vgpr17
; %bb.186:
	s_delay_alu instid0(SALU_CYCLE_1)
	s_and_not1_saveexec_b32 s5, s5
; %bb.187:
	v_mov_b32_e32 v13, v17
; %bb.188:
	s_or_b32 exec_lo, exec_lo, s5
	s_delay_alu instid0(VALU_DEP_1)
	v_mov_b32_e32 v14, v13
.LBB84_189:
	s_or_b32 exec_lo, exec_lo, s4
	s_delay_alu instid0(SALU_CYCLE_1)
	s_xor_b32 s4, exec_lo, -1
	s_or_b32 s5, s2, exec_lo
.LBB84_190:
	s_or_b32 exec_lo, exec_lo, s3
	v_mov_b32_e32 v12, v14
	s_and_not1_b32 s8, s2, exec_lo
	s_and_b32 s5, s5, exec_lo
	s_xor_b32 s3, exec_lo, -1
	s_and_b32 s4, s4, exec_lo
	s_or_b32 s5, s8, s5
.LBB84_191:
	s_or_b32 exec_lo, exec_lo, s0
	s_delay_alu instid0(SALU_CYCLE_1)
	s_and_not1_b32 s2, s2, exec_lo
	s_and_b32 s5, s5, exec_lo
	s_and_b32 s3, s3, exec_lo
	;; [unrolled: 1-line block ×3, first 2 shown]
	s_or_b32 s2, s2, s5
	s_or_b32 exec_lo, exec_lo, s1
	s_and_saveexec_b32 s1, s2
	s_cbranch_execz .LBB84_139
.LBB84_192:
	v_mov_b32_e32 v2, 0
	global_store_b16 v2, v12, s[6:7]
	s_or_b32 exec_lo, exec_lo, s1
	s_and_saveexec_b32 s1, s0
	s_cbranch_execz .LBB84_197
.LBB84_193:
	s_mov_b32 s0, exec_lo
	v_cmpx_lt_i64_e32 6, v[0:1]
	s_xor_b32 s0, exec_lo, s0
	s_cbranch_execz .LBB84_195
; %bb.194:
	v_mov_b32_e32 v2, 0
                                        ; implicit-def: $vgpr10
	global_store_b16 v2, v11, s[6:7]
.LBB84_195:
	s_and_not1_saveexec_b32 s0, s0
	s_cbranch_execz .LBB84_197
; %bb.196:
	v_mov_b32_e32 v2, 0
	global_store_b16 v2, v10, s[6:7]
.LBB84_197:
	s_or_b32 exec_lo, exec_lo, s1
	s_delay_alu instid0(SALU_CYCLE_1)
	s_and_b32 exec_lo, exec_lo, s3
	s_cbranch_execz .LBB84_216
; %bb.198:
	s_mov_b32 s0, exec_lo
	v_cmpx_lt_i64_e32 2, v[0:1]
	s_xor_b32 s0, exec_lo, s0
	s_cbranch_execz .LBB84_208
; %bb.199:
	s_mov_b32 s1, exec_lo
	v_cmpx_lt_i64_e32 3, v[0:1]
	s_xor_b32 s1, exec_lo, s1
	;; [unrolled: 5-line block ×3, first 2 shown]
	s_cbranch_execz .LBB84_202
; %bb.201:
	v_mov_b32_e32 v0, 0
                                        ; implicit-def: $vgpr6
	global_store_b16 v0, v9, s[6:7]
.LBB84_202:
	s_and_not1_saveexec_b32 s2, s2
	s_cbranch_execz .LBB84_204
; %bb.203:
	v_mov_b32_e32 v0, 0
	global_store_b16 v0, v6, s[6:7]
.LBB84_204:
	s_or_b32 exec_lo, exec_lo, s2
                                        ; implicit-def: $vgpr8
.LBB84_205:
	s_and_not1_saveexec_b32 s1, s1
	s_cbranch_execz .LBB84_207
; %bb.206:
	v_mov_b32_e32 v0, 0
	global_store_b16 v0, v8, s[6:7]
.LBB84_207:
	s_or_b32 exec_lo, exec_lo, s1
                                        ; implicit-def: $vgpr0_vgpr1
                                        ; implicit-def: $vgpr7
                                        ; implicit-def: $vgpr4
                                        ; implicit-def: $vgpr5
.LBB84_208:
	s_and_not1_saveexec_b32 s0, s0
	s_cbranch_execz .LBB84_216
; %bb.209:
	s_mov_b32 s0, exec_lo
	v_cmpx_lt_i64_e32 1, v[0:1]
	s_xor_b32 s0, exec_lo, s0
	s_cbranch_execz .LBB84_211
; %bb.210:
	v_mov_b32_e32 v0, 0
                                        ; implicit-def: $vgpr4
                                        ; implicit-def: $vgpr5
	global_store_b16 v0, v7, s[6:7]
                                        ; implicit-def: $vgpr0_vgpr1
.LBB84_211:
	s_and_not1_saveexec_b32 s0, s0
	s_cbranch_execz .LBB84_216
; %bb.212:
	s_mov_b32 s0, exec_lo
	v_cmpx_ne_u64_e32 1, v[0:1]
	s_xor_b32 s0, exec_lo, s0
	s_cbranch_execz .LBB84_214
; %bb.213:
	v_mov_b32_e32 v0, 0
                                        ; implicit-def: $vgpr4
	global_store_b16 v0, v5, s[6:7]
.LBB84_214:
	s_and_not1_saveexec_b32 s0, s0
	s_cbranch_execz .LBB84_216
; %bb.215:
	v_mov_b32_e32 v0, 0
	global_store_b16 v0, v4, s[6:7]
.LBB84_216:
	s_nop 0
	s_sendmsg sendmsg(MSG_DEALLOC_VGPRS)
	s_endpgm
	.section	.rodata,"a",@progbits
	.p2align	6, 0x0
	.amdhsa_kernel _ZN7rocprim17ROCPRIM_304000_NS6detail20lookback_scan_kernelILNS1_25lookback_scan_determinismE0ELb0ENS1_19wrapped_scan_configINS0_14default_configEN3c104HalfEEEPKS7_PS7_St10multipliesIS7_ES7_S7_NS1_19lookback_scan_stateIS7_Lb0ELb1EEEEEvT2_T3_mT5_T4_T7_jPT6_SM_bb
		.amdhsa_group_segment_fixed_size 2816
		.amdhsa_private_segment_fixed_size 0
		.amdhsa_kernarg_size 68
		.amdhsa_user_sgpr_count 15
		.amdhsa_user_sgpr_dispatch_ptr 0
		.amdhsa_user_sgpr_queue_ptr 0
		.amdhsa_user_sgpr_kernarg_segment_ptr 1
		.amdhsa_user_sgpr_dispatch_id 0
		.amdhsa_user_sgpr_private_segment_size 0
		.amdhsa_wavefront_size32 1
		.amdhsa_uses_dynamic_stack 0
		.amdhsa_enable_private_segment 0
		.amdhsa_system_sgpr_workgroup_id_x 1
		.amdhsa_system_sgpr_workgroup_id_y 0
		.amdhsa_system_sgpr_workgroup_id_z 0
		.amdhsa_system_sgpr_workgroup_info 0
		.amdhsa_system_vgpr_workitem_id 0
		.amdhsa_next_free_vgpr 53
		.amdhsa_next_free_sgpr 20
		.amdhsa_reserve_vcc 1
		.amdhsa_float_round_mode_32 0
		.amdhsa_float_round_mode_16_64 0
		.amdhsa_float_denorm_mode_32 3
		.amdhsa_float_denorm_mode_16_64 3
		.amdhsa_dx10_clamp 1
		.amdhsa_ieee_mode 1
		.amdhsa_fp16_overflow 0
		.amdhsa_workgroup_processor_mode 1
		.amdhsa_memory_ordered 1
		.amdhsa_forward_progress 0
		.amdhsa_shared_vgpr_count 0
		.amdhsa_exception_fp_ieee_invalid_op 0
		.amdhsa_exception_fp_denorm_src 0
		.amdhsa_exception_fp_ieee_div_zero 0
		.amdhsa_exception_fp_ieee_overflow 0
		.amdhsa_exception_fp_ieee_underflow 0
		.amdhsa_exception_fp_ieee_inexact 0
		.amdhsa_exception_int_div_zero 0
	.end_amdhsa_kernel
	.section	.text._ZN7rocprim17ROCPRIM_304000_NS6detail20lookback_scan_kernelILNS1_25lookback_scan_determinismE0ELb0ENS1_19wrapped_scan_configINS0_14default_configEN3c104HalfEEEPKS7_PS7_St10multipliesIS7_ES7_S7_NS1_19lookback_scan_stateIS7_Lb0ELb1EEEEEvT2_T3_mT5_T4_T7_jPT6_SM_bb,"axG",@progbits,_ZN7rocprim17ROCPRIM_304000_NS6detail20lookback_scan_kernelILNS1_25lookback_scan_determinismE0ELb0ENS1_19wrapped_scan_configINS0_14default_configEN3c104HalfEEEPKS7_PS7_St10multipliesIS7_ES7_S7_NS1_19lookback_scan_stateIS7_Lb0ELb1EEEEEvT2_T3_mT5_T4_T7_jPT6_SM_bb,comdat
.Lfunc_end84:
	.size	_ZN7rocprim17ROCPRIM_304000_NS6detail20lookback_scan_kernelILNS1_25lookback_scan_determinismE0ELb0ENS1_19wrapped_scan_configINS0_14default_configEN3c104HalfEEEPKS7_PS7_St10multipliesIS7_ES7_S7_NS1_19lookback_scan_stateIS7_Lb0ELb1EEEEEvT2_T3_mT5_T4_T7_jPT6_SM_bb, .Lfunc_end84-_ZN7rocprim17ROCPRIM_304000_NS6detail20lookback_scan_kernelILNS1_25lookback_scan_determinismE0ELb0ENS1_19wrapped_scan_configINS0_14default_configEN3c104HalfEEEPKS7_PS7_St10multipliesIS7_ES7_S7_NS1_19lookback_scan_stateIS7_Lb0ELb1EEEEEvT2_T3_mT5_T4_T7_jPT6_SM_bb
                                        ; -- End function
	.section	.AMDGPU.csdata,"",@progbits
; Kernel info:
; codeLenInByte = 8232
; NumSgprs: 22
; NumVgprs: 53
; ScratchSize: 0
; MemoryBound: 0
; FloatMode: 240
; IeeeMode: 1
; LDSByteSize: 2816 bytes/workgroup (compile time only)
; SGPRBlocks: 2
; VGPRBlocks: 6
; NumSGPRsForWavesPerEU: 22
; NumVGPRsForWavesPerEU: 53
; Occupancy: 16
; WaveLimiterHint : 1
; COMPUTE_PGM_RSRC2:SCRATCH_EN: 0
; COMPUTE_PGM_RSRC2:USER_SGPR: 15
; COMPUTE_PGM_RSRC2:TRAP_HANDLER: 0
; COMPUTE_PGM_RSRC2:TGID_X_EN: 1
; COMPUTE_PGM_RSRC2:TGID_Y_EN: 0
; COMPUTE_PGM_RSRC2:TGID_Z_EN: 0
; COMPUTE_PGM_RSRC2:TIDIG_COMP_CNT: 0
	.section	.text._ZN7rocprim17ROCPRIM_304000_NS6detail16transform_kernelINS1_24wrapped_transform_configINS0_14default_configEN3c104HalfEEES6_PS6_S8_NS0_8identityIS6_EEEEvT1_mT2_T3_,"axG",@progbits,_ZN7rocprim17ROCPRIM_304000_NS6detail16transform_kernelINS1_24wrapped_transform_configINS0_14default_configEN3c104HalfEEES6_PS6_S8_NS0_8identityIS6_EEEEvT1_mT2_T3_,comdat
	.protected	_ZN7rocprim17ROCPRIM_304000_NS6detail16transform_kernelINS1_24wrapped_transform_configINS0_14default_configEN3c104HalfEEES6_PS6_S8_NS0_8identityIS6_EEEEvT1_mT2_T3_ ; -- Begin function _ZN7rocprim17ROCPRIM_304000_NS6detail16transform_kernelINS1_24wrapped_transform_configINS0_14default_configEN3c104HalfEEES6_PS6_S8_NS0_8identityIS6_EEEEvT1_mT2_T3_
	.globl	_ZN7rocprim17ROCPRIM_304000_NS6detail16transform_kernelINS1_24wrapped_transform_configINS0_14default_configEN3c104HalfEEES6_PS6_S8_NS0_8identityIS6_EEEEvT1_mT2_T3_
	.p2align	8
	.type	_ZN7rocprim17ROCPRIM_304000_NS6detail16transform_kernelINS1_24wrapped_transform_configINS0_14default_configEN3c104HalfEEES6_PS6_S8_NS0_8identityIS6_EEEEvT1_mT2_T3_,@function
_ZN7rocprim17ROCPRIM_304000_NS6detail16transform_kernelINS1_24wrapped_transform_configINS0_14default_configEN3c104HalfEEES6_PS6_S8_NS0_8identityIS6_EEEEvT1_mT2_T3_: ; @_ZN7rocprim17ROCPRIM_304000_NS6detail16transform_kernelINS1_24wrapped_transform_configINS0_14default_configEN3c104HalfEEES6_PS6_S8_NS0_8identityIS6_EEEEvT1_mT2_T3_
; %bb.0:
	s_clause 0x2
	s_load_b32 s10, s[0:1], 0x20
	s_load_b128 s[4:7], s[0:1], 0x0
	s_load_b64 s[0:1], s[0:1], 0x10
	s_mov_b32 s9, 0
	s_lshl_b32 s8, s15, 11
	v_lshlrev_b32_e32 v3, 1, v0
	s_lshl_b64 s[2:3], s[8:9], 1
	s_waitcnt lgkmcnt(0)
	s_add_i32 s10, s10, -1
	s_add_u32 s4, s4, s2
	s_addc_u32 s5, s5, s3
	v_add_co_u32 v1, s4, s4, v3
	s_delay_alu instid0(VALU_DEP_1)
	v_add_co_ci_u32_e64 v2, null, s5, 0, s4
	s_cmp_lg_u32 s15, s10
	s_mov_b32 s4, -1
	s_cbranch_scc0 .LBB85_2
; %bb.1:
	s_clause 0x1
	global_load_u16 v5, v[1:2], off
	global_load_u16 v4, v[1:2], off offset:2048
	s_add_u32 s10, s0, s2
	s_addc_u32 s11, s1, s3
	s_mov_b32 s9, -1
	s_waitcnt vmcnt(1)
	global_store_b16 v3, v5, s[10:11]
	s_cbranch_execz .LBB85_3
	s_branch .LBB85_10
.LBB85_2:
                                        ; implicit-def: $vgpr4
	s_and_not1_b32 vcc_lo, exec_lo, s4
	s_cbranch_vccnz .LBB85_10
.LBB85_3:
	s_sub_i32 s4, s6, s8
                                        ; implicit-def: $vgpr5
	s_delay_alu instid0(SALU_CYCLE_1)
	v_cmp_gt_u32_e32 vcc_lo, s4, v0
	s_and_saveexec_b32 s5, vcc_lo
	s_cbranch_execz .LBB85_5
; %bb.4:
	global_load_u16 v5, v[1:2], off
.LBB85_5:
	s_or_b32 exec_lo, exec_lo, s5
	v_or_b32_e32 v0, 0x400, v0
                                        ; implicit-def: $vgpr4
	s_delay_alu instid0(VALU_DEP_1) | instskip(NEXT) | instid1(VALU_DEP_1)
	v_cmp_gt_u32_e64 s9, s4, v0
	s_and_saveexec_b32 s4, s9
	s_cbranch_execz .LBB85_7
; %bb.6:
	global_load_u16 v4, v[1:2], off offset:2048
.LBB85_7:
	s_or_b32 exec_lo, exec_lo, s4
	s_and_saveexec_b32 s4, vcc_lo
	s_delay_alu instid0(SALU_CYCLE_1)
	s_xor_b32 s4, exec_lo, s4
	s_cbranch_execz .LBB85_9
; %bb.8:
	s_add_u32 s6, s0, s2
	s_addc_u32 s7, s1, s3
	s_waitcnt vmcnt(0)
	global_store_b16 v3, v5, s[6:7]
.LBB85_9:
	s_or_b32 exec_lo, exec_lo, s4
.LBB85_10:
	s_and_saveexec_b32 s4, s9
	s_cbranch_execnz .LBB85_12
; %bb.11:
	s_nop 0
	s_sendmsg sendmsg(MSG_DEALLOC_VGPRS)
	s_endpgm
.LBB85_12:
	s_add_u32 s0, s0, s2
	s_addc_u32 s1, s1, s3
	s_waitcnt vmcnt(0)
	global_store_b16 v3, v4, s[0:1] offset:2048
	s_nop 0
	s_sendmsg sendmsg(MSG_DEALLOC_VGPRS)
	s_endpgm
	.section	.rodata,"a",@progbits
	.p2align	6, 0x0
	.amdhsa_kernel _ZN7rocprim17ROCPRIM_304000_NS6detail16transform_kernelINS1_24wrapped_transform_configINS0_14default_configEN3c104HalfEEES6_PS6_S8_NS0_8identityIS6_EEEEvT1_mT2_T3_
		.amdhsa_group_segment_fixed_size 0
		.amdhsa_private_segment_fixed_size 0
		.amdhsa_kernarg_size 288
		.amdhsa_user_sgpr_count 15
		.amdhsa_user_sgpr_dispatch_ptr 0
		.amdhsa_user_sgpr_queue_ptr 0
		.amdhsa_user_sgpr_kernarg_segment_ptr 1
		.amdhsa_user_sgpr_dispatch_id 0
		.amdhsa_user_sgpr_private_segment_size 0
		.amdhsa_wavefront_size32 1
		.amdhsa_uses_dynamic_stack 0
		.amdhsa_enable_private_segment 0
		.amdhsa_system_sgpr_workgroup_id_x 1
		.amdhsa_system_sgpr_workgroup_id_y 0
		.amdhsa_system_sgpr_workgroup_id_z 0
		.amdhsa_system_sgpr_workgroup_info 0
		.amdhsa_system_vgpr_workitem_id 0
		.amdhsa_next_free_vgpr 6
		.amdhsa_next_free_sgpr 16
		.amdhsa_reserve_vcc 1
		.amdhsa_float_round_mode_32 0
		.amdhsa_float_round_mode_16_64 0
		.amdhsa_float_denorm_mode_32 3
		.amdhsa_float_denorm_mode_16_64 3
		.amdhsa_dx10_clamp 1
		.amdhsa_ieee_mode 1
		.amdhsa_fp16_overflow 0
		.amdhsa_workgroup_processor_mode 1
		.amdhsa_memory_ordered 1
		.amdhsa_forward_progress 0
		.amdhsa_shared_vgpr_count 0
		.amdhsa_exception_fp_ieee_invalid_op 0
		.amdhsa_exception_fp_denorm_src 0
		.amdhsa_exception_fp_ieee_div_zero 0
		.amdhsa_exception_fp_ieee_overflow 0
		.amdhsa_exception_fp_ieee_underflow 0
		.amdhsa_exception_fp_ieee_inexact 0
		.amdhsa_exception_int_div_zero 0
	.end_amdhsa_kernel
	.section	.text._ZN7rocprim17ROCPRIM_304000_NS6detail16transform_kernelINS1_24wrapped_transform_configINS0_14default_configEN3c104HalfEEES6_PS6_S8_NS0_8identityIS6_EEEEvT1_mT2_T3_,"axG",@progbits,_ZN7rocprim17ROCPRIM_304000_NS6detail16transform_kernelINS1_24wrapped_transform_configINS0_14default_configEN3c104HalfEEES6_PS6_S8_NS0_8identityIS6_EEEEvT1_mT2_T3_,comdat
.Lfunc_end85:
	.size	_ZN7rocprim17ROCPRIM_304000_NS6detail16transform_kernelINS1_24wrapped_transform_configINS0_14default_configEN3c104HalfEEES6_PS6_S8_NS0_8identityIS6_EEEEvT1_mT2_T3_, .Lfunc_end85-_ZN7rocprim17ROCPRIM_304000_NS6detail16transform_kernelINS1_24wrapped_transform_configINS0_14default_configEN3c104HalfEEES6_PS6_S8_NS0_8identityIS6_EEEEvT1_mT2_T3_
                                        ; -- End function
	.section	.AMDGPU.csdata,"",@progbits
; Kernel info:
; codeLenInByte = 316
; NumSgprs: 18
; NumVgprs: 6
; ScratchSize: 0
; MemoryBound: 0
; FloatMode: 240
; IeeeMode: 1
; LDSByteSize: 0 bytes/workgroup (compile time only)
; SGPRBlocks: 2
; VGPRBlocks: 0
; NumSGPRsForWavesPerEU: 18
; NumVGPRsForWavesPerEU: 6
; Occupancy: 16
; WaveLimiterHint : 1
; COMPUTE_PGM_RSRC2:SCRATCH_EN: 0
; COMPUTE_PGM_RSRC2:USER_SGPR: 15
; COMPUTE_PGM_RSRC2:TRAP_HANDLER: 0
; COMPUTE_PGM_RSRC2:TGID_X_EN: 1
; COMPUTE_PGM_RSRC2:TGID_Y_EN: 0
; COMPUTE_PGM_RSRC2:TGID_Z_EN: 0
; COMPUTE_PGM_RSRC2:TIDIG_COMP_CNT: 0
	.section	.text._ZN7rocprim17ROCPRIM_304000_NS6detail18single_scan_kernelILb0ENS1_19wrapped_scan_configINS0_14default_configEN3c104HalfEEEPKS6_PS6_St10multipliesIS6_ES6_S6_EEvT1_mT4_T2_T3_,"axG",@progbits,_ZN7rocprim17ROCPRIM_304000_NS6detail18single_scan_kernelILb0ENS1_19wrapped_scan_configINS0_14default_configEN3c104HalfEEEPKS6_PS6_St10multipliesIS6_ES6_S6_EEvT1_mT4_T2_T3_,comdat
	.protected	_ZN7rocprim17ROCPRIM_304000_NS6detail18single_scan_kernelILb0ENS1_19wrapped_scan_configINS0_14default_configEN3c104HalfEEEPKS6_PS6_St10multipliesIS6_ES6_S6_EEvT1_mT4_T2_T3_ ; -- Begin function _ZN7rocprim17ROCPRIM_304000_NS6detail18single_scan_kernelILb0ENS1_19wrapped_scan_configINS0_14default_configEN3c104HalfEEEPKS6_PS6_St10multipliesIS6_ES6_S6_EEvT1_mT4_T2_T3_
	.globl	_ZN7rocprim17ROCPRIM_304000_NS6detail18single_scan_kernelILb0ENS1_19wrapped_scan_configINS0_14default_configEN3c104HalfEEEPKS6_PS6_St10multipliesIS6_ES6_S6_EEvT1_mT4_T2_T3_
	.p2align	8
	.type	_ZN7rocprim17ROCPRIM_304000_NS6detail18single_scan_kernelILb0ENS1_19wrapped_scan_configINS0_14default_configEN3c104HalfEEEPKS6_PS6_St10multipliesIS6_ES6_S6_EEvT1_mT4_T2_T3_,@function
_ZN7rocprim17ROCPRIM_304000_NS6detail18single_scan_kernelILb0ENS1_19wrapped_scan_configINS0_14default_configEN3c104HalfEEEPKS6_PS6_St10multipliesIS6_ES6_S6_EEvT1_mT4_T2_T3_: ; @_ZN7rocprim17ROCPRIM_304000_NS6detail18single_scan_kernelILb0ENS1_19wrapped_scan_configINS0_14default_configEN3c104HalfEEEPKS6_PS6_St10multipliesIS6_ES6_S6_EEvT1_mT4_T2_T3_
; %bb.0:
	s_load_b128 s[20:23], s[0:1], 0x0
	v_mov_b32_e32 v1, 0
	v_lshlrev_b32_e32 v11, 1, v0
	s_waitcnt lgkmcnt(0)
	global_load_u16 v3, v1, s[20:21]
	v_add_co_u32 v1, s2, s20, v11
	s_delay_alu instid0(VALU_DEP_1)
	v_add_co_ci_u32_e64 v2, null, s21, 0, s2
	v_cmp_gt_u32_e32 vcc_lo, s22, v0
	s_waitcnt vmcnt(0)
	v_mov_b32_e32 v4, v3
	s_and_saveexec_b32 s2, vcc_lo
	s_cbranch_execz .LBB86_2
; %bb.1:
	global_load_u16 v4, v[1:2], off
.LBB86_2:
	s_or_b32 exec_lo, exec_lo, s2
	v_or_b32_e32 v5, 64, v0
	s_delay_alu instid0(VALU_DEP_1) | instskip(SKIP_1) | instid1(VALU_DEP_2)
	v_cmp_gt_u32_e64 s2, s22, v5
	v_mov_b32_e32 v5, v3
	s_and_saveexec_b32 s3, s2
	s_cbranch_execz .LBB86_4
; %bb.3:
	global_load_u16 v5, v[1:2], off offset:128
.LBB86_4:
	s_or_b32 exec_lo, exec_lo, s3
	v_or_b32_e32 v6, 0x80, v0
	s_delay_alu instid0(VALU_DEP_1) | instskip(SKIP_1) | instid1(VALU_DEP_2)
	v_cmp_gt_u32_e64 s3, s22, v6
	v_mov_b32_e32 v6, v3
	s_and_saveexec_b32 s4, s3
	s_cbranch_execz .LBB86_6
; %bb.5:
	global_load_u16 v6, v[1:2], off offset:256
.LBB86_6:
	;; [unrolled: 10-line block ×20, first 2 shown]
	s_or_b32 exec_lo, exec_lo, s23
	v_or_b32_e32 v26, 0x540, v0
	s_delay_alu instid0(VALU_DEP_1) | instskip(NEXT) | instid1(VALU_DEP_1)
	v_cmp_gt_u32_e64 s22, s22, v26
	s_and_saveexec_b32 s23, s22
	s_cbranch_execz .LBB86_44
; %bb.43:
	global_load_u16 v3, v[1:2], off offset:2688
.LBB86_44:
	s_or_b32 exec_lo, exec_lo, s23
	s_waitcnt vmcnt(0)
	ds_store_b16 v11, v4
	ds_store_b16 v11, v5 offset:128
	ds_store_b16 v11, v6 offset:256
	;; [unrolled: 1-line block ×15, first 2 shown]
	v_mad_u32_u24 v12, v0, 42, v11
	ds_store_b16 v11, v21 offset:2048
	ds_store_b16 v11, v22 offset:2176
	;; [unrolled: 1-line block ×6, first 2 shown]
	s_waitcnt lgkmcnt(0)
	s_barrier
	buffer_gl0_inv
	ds_load_2addr_b32 v[7:8], v12 offset1:1
	ds_load_2addr_b32 v[5:6], v12 offset0:2 offset1:3
	ds_load_2addr_b32 v[3:4], v12 offset0:4 offset1:5
	ds_load_2addr_b32 v[1:2], v12 offset0:6 offset1:7
	v_lshrrev_b32_e32 v25, 4, v0
	s_mov_b32 s24, exec_lo
	s_delay_alu instid0(VALU_DEP_1) | instskip(NEXT) | instid1(VALU_DEP_1)
	v_and_b32_e32 v25, 2, v25
	v_add_nc_u32_e32 v27, v11, v25
	s_waitcnt lgkmcnt(3)
	v_lshrrev_b32_e32 v15, 16, v7
	v_lshrrev_b32_e32 v16, 16, v8
	s_waitcnt lgkmcnt(2)
	v_lshrrev_b32_e32 v17, 16, v5
	v_lshrrev_b32_e32 v18, 16, v6
	s_waitcnt lgkmcnt(1)
	v_lshrrev_b32_e32 v19, 16, v3
	v_mul_f16_e32 v9, v7, v15
	v_lshrrev_b32_e32 v20, 16, v4
	s_waitcnt lgkmcnt(0)
	v_lshrrev_b32_e32 v22, 16, v1
	v_lshrrev_b32_e32 v23, 16, v2
	v_mul_f16_e32 v9, v9, v8
	s_delay_alu instid0(VALU_DEP_1) | instskip(NEXT) | instid1(VALU_DEP_1)
	v_mul_f16_e32 v9, v9, v16
	v_mul_f16_e32 v9, v9, v5
	s_delay_alu instid0(VALU_DEP_1) | instskip(NEXT) | instid1(VALU_DEP_1)
	v_mul_f16_e32 v9, v9, v17
	;; [unrolled: 3-line block ×4, first 2 shown]
	v_mul_f16_e32 v9, v9, v4
	s_delay_alu instid0(VALU_DEP_1) | instskip(SKIP_2) | instid1(VALU_DEP_1)
	v_mul_f16_e32 v13, v9, v20
	ds_load_2addr_b32 v[9:10], v12 offset0:8 offset1:9
	v_mul_f16_e32 v13, v13, v1
	v_mul_f16_e32 v13, v13, v22
	s_delay_alu instid0(VALU_DEP_1) | instskip(NEXT) | instid1(VALU_DEP_1)
	v_mul_f16_e32 v13, v13, v2
	v_mul_f16_e32 v14, v13, v23
	ds_load_b32 v13, v12 offset:40
	s_waitcnt lgkmcnt(1)
	v_lshrrev_b32_e32 v24, 16, v9
	v_lshrrev_b32_e32 v21, 16, v10
	s_waitcnt lgkmcnt(0)
	v_mul_f16_e32 v14, v14, v9
	s_barrier
	buffer_gl0_inv
	v_mul_f16_e32 v14, v14, v24
	s_delay_alu instid0(VALU_DEP_1) | instskip(NEXT) | instid1(VALU_DEP_1)
	v_mul_f16_e32 v14, v14, v10
	v_mul_f16_e32 v26, v14, v21
	v_lshrrev_b32_e32 v14, 16, v13
	s_delay_alu instid0(VALU_DEP_2) | instskip(NEXT) | instid1(VALU_DEP_1)
	v_mul_f16_e32 v26, v26, v13
	v_mul_f16_e32 v25, v26, v14
	ds_store_b16 v27, v25
	s_waitcnt lgkmcnt(0)
	s_barrier
	buffer_gl0_inv
	v_cmpx_gt_u32_e32 32, v0
	s_cbranch_execz .LBB86_46
; %bb.45:
	v_lshrrev_b32_e32 v26, 3, v0
	v_mbcnt_lo_u32_b32 v31, -1, 0
	s_delay_alu instid0(VALU_DEP_2) | instskip(NEXT) | instid1(VALU_DEP_2)
	v_and_b32_e32 v26, 6, v26
	v_and_b32_e32 v32, 15, v31
	v_add_nc_u32_e32 v33, -1, v31
	s_delay_alu instid0(VALU_DEP_3) | instskip(NEXT) | instid1(VALU_DEP_3)
	v_lshl_or_b32 v26, v0, 2, v26
	v_cmp_eq_u32_e64 s23, 0, v32
	ds_load_u16 v27, v26
	ds_load_u16 v28, v26 offset:2
	s_waitcnt lgkmcnt(0)
	v_mul_f16_e32 v29, v27, v28
	s_delay_alu instid0(VALU_DEP_1) | instskip(NEXT) | instid1(VALU_DEP_1)
	v_and_b32_e32 v30, 0xffff, v29
	v_mov_b32_dpp v30, v30 row_shr:1 row_mask:0xf bank_mask:0xf
	s_delay_alu instid0(VALU_DEP_1) | instskip(NEXT) | instid1(VALU_DEP_1)
	v_mul_f16_e32 v30, v29, v30
	v_cndmask_b32_e64 v29, v30, v29, s23
	v_cmp_lt_u32_e64 s23, 1, v32
	s_delay_alu instid0(VALU_DEP_2) | instskip(NEXT) | instid1(VALU_DEP_1)
	v_and_b32_e32 v30, 0xffff, v29
	v_mov_b32_dpp v30, v30 row_shr:2 row_mask:0xf bank_mask:0xf
	s_delay_alu instid0(VALU_DEP_1) | instskip(NEXT) | instid1(VALU_DEP_1)
	v_mul_f16_e32 v30, v29, v30
	v_cndmask_b32_e64 v29, v29, v30, s23
	v_cmp_lt_u32_e64 s23, 3, v32
	s_delay_alu instid0(VALU_DEP_2) | instskip(NEXT) | instid1(VALU_DEP_1)
	v_and_b32_e32 v30, 0xffff, v29
	v_mov_b32_dpp v30, v30 row_shr:4 row_mask:0xf bank_mask:0xf
	s_delay_alu instid0(VALU_DEP_1) | instskip(NEXT) | instid1(VALU_DEP_1)
	v_mul_f16_e32 v30, v29, v30
	v_cndmask_b32_e64 v29, v29, v30, s23
	v_cmp_lt_u32_e64 s23, 7, v32
	v_and_b32_e32 v32, 16, v31
	s_delay_alu instid0(VALU_DEP_3) | instskip(NEXT) | instid1(VALU_DEP_1)
	v_and_b32_e32 v30, 0xffff, v29
	v_mov_b32_dpp v30, v30 row_shr:8 row_mask:0xf bank_mask:0xf
	s_delay_alu instid0(VALU_DEP_1) | instskip(NEXT) | instid1(VALU_DEP_1)
	v_mul_f16_e32 v30, v29, v30
	v_cndmask_b32_e64 v29, v29, v30, s23
	v_cmp_eq_u32_e64 s23, 0, v32
	s_delay_alu instid0(VALU_DEP_2) | instskip(SKIP_3) | instid1(VALU_DEP_1)
	v_and_b32_e32 v30, 0xffff, v29
	ds_swizzle_b32 v30, v30 offset:swizzle(BROADCAST,32,15)
	s_waitcnt lgkmcnt(0)
	v_mul_f16_e32 v30, v29, v30
	v_cndmask_b32_e64 v29, v30, v29, s23
	v_cmp_gt_i32_e64 s23, 0, v33
	s_delay_alu instid0(VALU_DEP_2) | instskip(NEXT) | instid1(VALU_DEP_2)
	v_and_b32_e32 v29, 0xffff, v29
	v_cndmask_b32_e64 v30, v33, v31, s23
	v_cmp_eq_u32_e64 s23, 0, v0
	s_delay_alu instid0(VALU_DEP_2) | instskip(SKIP_3) | instid1(VALU_DEP_1)
	v_lshlrev_b32_e32 v30, 2, v30
	ds_bpermute_b32 v29, v30, v29
	s_waitcnt lgkmcnt(0)
	v_mul_f16_e32 v27, v27, v29
	v_cndmask_b32_e64 v27, v27, v25, s23
	s_delay_alu instid0(VALU_DEP_1)
	v_mul_f16_e32 v28, v28, v27
	ds_store_b16 v26, v27
	ds_store_b16 v26, v28 offset:2
.LBB86_46:
	s_or_b32 exec_lo, exec_lo, s24
	v_cmp_eq_u32_e64 s23, 0, v0
	s_mov_b32 s25, exec_lo
	s_waitcnt lgkmcnt(0)
	s_barrier
	buffer_gl0_inv
	v_cmpx_ne_u32_e32 0, v0
	s_cbranch_execz .LBB86_48
; %bb.47:
	v_add_nc_u32_e32 v25, -1, v0
	s_delay_alu instid0(VALU_DEP_1) | instskip(NEXT) | instid1(VALU_DEP_1)
	v_lshrrev_b32_e32 v26, 5, v25
	v_add_lshl_u32 v25, v26, v25, 1
	ds_load_u16 v25, v25
.LBB86_48:
	s_or_b32 exec_lo, exec_lo, s25
	s_waitcnt lgkmcnt(0)
	v_mul_f16_e32 v25, v7, v25
	v_mad_i32_i24 v0, 0xffffffd6, v0, v12
	s_barrier
	buffer_gl0_inv
	v_cndmask_b32_e64 v7, v25, v7, s23
	s_load_b64 s[0:1], s[0:1], 0x18
	s_delay_alu instid0(VALU_DEP_1) | instskip(NEXT) | instid1(VALU_DEP_1)
	v_mul_f16_e32 v15, v15, v7
	v_mul_f16_e32 v8, v8, v15
	v_perm_b32 v7, v15, v7, 0x5040100
	s_delay_alu instid0(VALU_DEP_2) | instskip(NEXT) | instid1(VALU_DEP_1)
	v_mul_f16_e32 v16, v16, v8
	v_mul_f16_e32 v5, v5, v16
	v_pack_b32_f16 v8, v8, v16
	s_delay_alu instid0(VALU_DEP_2) | instskip(NEXT) | instid1(VALU_DEP_1)
	v_mul_f16_e32 v17, v17, v5
	v_mul_f16_e32 v6, v6, v17
	v_pack_b32_f16 v5, v5, v17
	s_delay_alu instid0(VALU_DEP_2) | instskip(NEXT) | instid1(VALU_DEP_1)
	v_mul_f16_e32 v18, v18, v6
	v_mul_f16_e32 v3, v3, v18
	v_pack_b32_f16 v6, v6, v18
	s_delay_alu instid0(VALU_DEP_2) | instskip(NEXT) | instid1(VALU_DEP_1)
	v_mul_f16_e32 v19, v19, v3
	v_mul_f16_e32 v4, v4, v19
	v_pack_b32_f16 v3, v3, v19
	s_delay_alu instid0(VALU_DEP_2) | instskip(NEXT) | instid1(VALU_DEP_1)
	v_mul_f16_e32 v20, v20, v4
	v_mul_f16_e32 v1, v1, v20
	v_pack_b32_f16 v4, v4, v20
	s_delay_alu instid0(VALU_DEP_2) | instskip(NEXT) | instid1(VALU_DEP_1)
	v_mul_f16_e32 v22, v22, v1
	v_mul_f16_e32 v2, v2, v22
	v_pack_b32_f16 v1, v1, v22
	s_delay_alu instid0(VALU_DEP_2) | instskip(NEXT) | instid1(VALU_DEP_1)
	v_mul_f16_e32 v23, v23, v2
	v_mul_f16_e32 v9, v9, v23
	v_pack_b32_f16 v2, v2, v23
	s_delay_alu instid0(VALU_DEP_2) | instskip(NEXT) | instid1(VALU_DEP_1)
	v_mul_f16_e32 v24, v24, v9
	v_mul_f16_e32 v10, v10, v24
	v_pack_b32_f16 v9, v9, v24
	s_delay_alu instid0(VALU_DEP_2) | instskip(NEXT) | instid1(VALU_DEP_1)
	v_mul_f16_e32 v21, v21, v10
	v_mul_f16_e32 v13, v13, v21
	v_pack_b32_f16 v10, v10, v21
	s_delay_alu instid0(VALU_DEP_2) | instskip(NEXT) | instid1(VALU_DEP_1)
	v_mul_f16_e32 v14, v14, v13
	v_pack_b32_f16 v13, v13, v14
	ds_store_2addr_b32 v12, v7, v8 offset1:1
	ds_store_2addr_b32 v12, v5, v6 offset0:2 offset1:3
	ds_store_2addr_b32 v12, v3, v4 offset0:4 offset1:5
	;; [unrolled: 1-line block ×4, first 2 shown]
	ds_store_b32 v12, v13 offset:40
	s_waitcnt lgkmcnt(0)
	s_barrier
	buffer_gl0_inv
	ds_load_u16 v22, v0 offset:256
	ds_load_u16 v21, v0 offset:384
	;; [unrolled: 1-line block ×21, first 2 shown]
	v_add_co_u32 v0, s0, s0, v11
	s_delay_alu instid0(VALU_DEP_1)
	v_add_co_ci_u32_e64 v1, null, s1, 0, s0
	s_and_saveexec_b32 s0, vcc_lo
	s_cbranch_execnz .LBB86_71
; %bb.49:
	s_or_b32 exec_lo, exec_lo, s0
	s_and_saveexec_b32 s0, s2
	s_cbranch_execnz .LBB86_72
.LBB86_50:
	s_or_b32 exec_lo, exec_lo, s0
	s_and_saveexec_b32 s0, s3
	s_cbranch_execnz .LBB86_73
.LBB86_51:
	s_or_b32 exec_lo, exec_lo, s0
	s_and_saveexec_b32 s0, s4
	s_cbranch_execnz .LBB86_74
.LBB86_52:
	s_or_b32 exec_lo, exec_lo, s0
	s_and_saveexec_b32 s0, s5
	s_cbranch_execnz .LBB86_75
.LBB86_53:
	s_or_b32 exec_lo, exec_lo, s0
	s_and_saveexec_b32 s0, s6
	s_cbranch_execnz .LBB86_76
.LBB86_54:
	s_or_b32 exec_lo, exec_lo, s0
	s_and_saveexec_b32 s0, s7
	s_cbranch_execnz .LBB86_77
.LBB86_55:
	s_or_b32 exec_lo, exec_lo, s0
	s_and_saveexec_b32 s0, s8
	s_cbranch_execnz .LBB86_78
.LBB86_56:
	s_or_b32 exec_lo, exec_lo, s0
	s_and_saveexec_b32 s0, s9
	s_cbranch_execnz .LBB86_79
.LBB86_57:
	s_or_b32 exec_lo, exec_lo, s0
	s_and_saveexec_b32 s0, s10
	s_cbranch_execnz .LBB86_80
.LBB86_58:
	s_or_b32 exec_lo, exec_lo, s0
	s_and_saveexec_b32 s0, s11
	s_cbranch_execnz .LBB86_81
.LBB86_59:
	s_or_b32 exec_lo, exec_lo, s0
	s_and_saveexec_b32 s0, s12
	s_cbranch_execnz .LBB86_82
.LBB86_60:
	s_or_b32 exec_lo, exec_lo, s0
	s_and_saveexec_b32 s0, s13
	s_cbranch_execnz .LBB86_83
.LBB86_61:
	s_or_b32 exec_lo, exec_lo, s0
	s_and_saveexec_b32 s0, s14
	s_cbranch_execnz .LBB86_84
.LBB86_62:
	s_or_b32 exec_lo, exec_lo, s0
	s_and_saveexec_b32 s0, s15
	s_cbranch_execnz .LBB86_85
.LBB86_63:
	s_or_b32 exec_lo, exec_lo, s0
	s_and_saveexec_b32 s0, s16
	s_cbranch_execnz .LBB86_86
.LBB86_64:
	s_or_b32 exec_lo, exec_lo, s0
	s_and_saveexec_b32 s0, s17
	s_cbranch_execnz .LBB86_87
.LBB86_65:
	s_or_b32 exec_lo, exec_lo, s0
	s_and_saveexec_b32 s0, s18
	s_cbranch_execnz .LBB86_88
.LBB86_66:
	s_or_b32 exec_lo, exec_lo, s0
	s_and_saveexec_b32 s0, s19
	s_cbranch_execnz .LBB86_89
.LBB86_67:
	s_or_b32 exec_lo, exec_lo, s0
	s_and_saveexec_b32 s0, s20
	s_cbranch_execnz .LBB86_90
.LBB86_68:
	s_or_b32 exec_lo, exec_lo, s0
	s_and_saveexec_b32 s0, s21
	s_cbranch_execnz .LBB86_91
.LBB86_69:
	s_or_b32 exec_lo, exec_lo, s0
	s_and_saveexec_b32 s0, s22
	s_cbranch_execnz .LBB86_92
.LBB86_70:
	s_nop 0
	s_sendmsg sendmsg(MSG_DEALLOC_VGPRS)
	s_endpgm
.LBB86_71:
	ds_load_u16 v11, v11
	s_waitcnt lgkmcnt(0)
	global_store_b16 v[0:1], v11, off
	s_or_b32 exec_lo, exec_lo, s0
	s_and_saveexec_b32 s0, s2
	s_cbranch_execz .LBB86_50
.LBB86_72:
	s_waitcnt lgkmcnt(6)
	global_store_b16 v[0:1], v23, off offset:128
	s_or_b32 exec_lo, exec_lo, s0
	s_and_saveexec_b32 s0, s3
	s_cbranch_execz .LBB86_51
.LBB86_73:
	s_waitcnt lgkmcnt(20)
	global_store_b16 v[0:1], v22, off offset:256
	s_or_b32 exec_lo, exec_lo, s0
	s_and_saveexec_b32 s0, s4
	s_cbranch_execz .LBB86_52
.LBB86_74:
	s_waitcnt lgkmcnt(19)
	global_store_b16 v[0:1], v21, off offset:384
	s_or_b32 exec_lo, exec_lo, s0
	s_and_saveexec_b32 s0, s5
	s_cbranch_execz .LBB86_53
.LBB86_75:
	s_waitcnt lgkmcnt(18)
	global_store_b16 v[0:1], v20, off offset:512
	s_or_b32 exec_lo, exec_lo, s0
	s_and_saveexec_b32 s0, s6
	s_cbranch_execz .LBB86_54
.LBB86_76:
	s_waitcnt lgkmcnt(17)
	global_store_b16 v[0:1], v19, off offset:640
	s_or_b32 exec_lo, exec_lo, s0
	s_and_saveexec_b32 s0, s7
	s_cbranch_execz .LBB86_55
.LBB86_77:
	s_waitcnt lgkmcnt(16)
	global_store_b16 v[0:1], v18, off offset:768
	s_or_b32 exec_lo, exec_lo, s0
	s_and_saveexec_b32 s0, s8
	s_cbranch_execz .LBB86_56
.LBB86_78:
	s_waitcnt lgkmcnt(15)
	global_store_b16 v[0:1], v17, off offset:896
	s_or_b32 exec_lo, exec_lo, s0
	s_and_saveexec_b32 s0, s9
	s_cbranch_execz .LBB86_57
.LBB86_79:
	s_waitcnt lgkmcnt(14)
	global_store_b16 v[0:1], v16, off offset:1024
	s_or_b32 exec_lo, exec_lo, s0
	s_and_saveexec_b32 s0, s10
	s_cbranch_execz .LBB86_58
.LBB86_80:
	s_waitcnt lgkmcnt(13)
	global_store_b16 v[0:1], v15, off offset:1152
	s_or_b32 exec_lo, exec_lo, s0
	s_and_saveexec_b32 s0, s11
	s_cbranch_execz .LBB86_59
.LBB86_81:
	s_waitcnt lgkmcnt(12)
	global_store_b16 v[0:1], v14, off offset:1280
	s_or_b32 exec_lo, exec_lo, s0
	s_and_saveexec_b32 s0, s12
	s_cbranch_execz .LBB86_60
.LBB86_82:
	s_waitcnt lgkmcnt(11)
	global_store_b16 v[0:1], v13, off offset:1408
	s_or_b32 exec_lo, exec_lo, s0
	s_and_saveexec_b32 s0, s13
	s_cbranch_execz .LBB86_61
.LBB86_83:
	s_waitcnt lgkmcnt(10)
	global_store_b16 v[0:1], v12, off offset:1536
	s_or_b32 exec_lo, exec_lo, s0
	s_and_saveexec_b32 s0, s14
	s_cbranch_execz .LBB86_62
.LBB86_84:
	s_waitcnt lgkmcnt(9)
	global_store_b16 v[0:1], v10, off offset:1664
	s_or_b32 exec_lo, exec_lo, s0
	s_and_saveexec_b32 s0, s15
	s_cbranch_execz .LBB86_63
.LBB86_85:
	s_waitcnt lgkmcnt(8)
	global_store_b16 v[0:1], v9, off offset:1792
	s_or_b32 exec_lo, exec_lo, s0
	s_and_saveexec_b32 s0, s16
	s_cbranch_execz .LBB86_64
.LBB86_86:
	s_waitcnt lgkmcnt(7)
	global_store_b16 v[0:1], v8, off offset:1920
	s_or_b32 exec_lo, exec_lo, s0
	s_and_saveexec_b32 s0, s17
	s_cbranch_execz .LBB86_65
.LBB86_87:
	s_waitcnt lgkmcnt(5)
	global_store_b16 v[0:1], v7, off offset:2048
	s_or_b32 exec_lo, exec_lo, s0
	s_and_saveexec_b32 s0, s18
	s_cbranch_execz .LBB86_66
.LBB86_88:
	s_waitcnt lgkmcnt(4)
	global_store_b16 v[0:1], v6, off offset:2176
	s_or_b32 exec_lo, exec_lo, s0
	s_and_saveexec_b32 s0, s19
	s_cbranch_execz .LBB86_67
.LBB86_89:
	s_waitcnt lgkmcnt(3)
	global_store_b16 v[0:1], v5, off offset:2304
	s_or_b32 exec_lo, exec_lo, s0
	s_and_saveexec_b32 s0, s20
	s_cbranch_execz .LBB86_68
.LBB86_90:
	s_waitcnt lgkmcnt(2)
	global_store_b16 v[0:1], v4, off offset:2432
	s_or_b32 exec_lo, exec_lo, s0
	s_and_saveexec_b32 s0, s21
	s_cbranch_execz .LBB86_69
.LBB86_91:
	s_waitcnt lgkmcnt(1)
	global_store_b16 v[0:1], v3, off offset:2560
	s_or_b32 exec_lo, exec_lo, s0
	s_and_saveexec_b32 s0, s22
	s_cbranch_execz .LBB86_70
.LBB86_92:
	s_waitcnt lgkmcnt(0)
	global_store_b16 v[0:1], v2, off offset:2688
	s_nop 0
	s_sendmsg sendmsg(MSG_DEALLOC_VGPRS)
	s_endpgm
	.section	.rodata,"a",@progbits
	.p2align	6, 0x0
	.amdhsa_kernel _ZN7rocprim17ROCPRIM_304000_NS6detail18single_scan_kernelILb0ENS1_19wrapped_scan_configINS0_14default_configEN3c104HalfEEEPKS6_PS6_St10multipliesIS6_ES6_S6_EEvT1_mT4_T2_T3_
		.amdhsa_group_segment_fixed_size 2816
		.amdhsa_private_segment_fixed_size 0
		.amdhsa_kernarg_size 36
		.amdhsa_user_sgpr_count 15
		.amdhsa_user_sgpr_dispatch_ptr 0
		.amdhsa_user_sgpr_queue_ptr 0
		.amdhsa_user_sgpr_kernarg_segment_ptr 1
		.amdhsa_user_sgpr_dispatch_id 0
		.amdhsa_user_sgpr_private_segment_size 0
		.amdhsa_wavefront_size32 1
		.amdhsa_uses_dynamic_stack 0
		.amdhsa_enable_private_segment 0
		.amdhsa_system_sgpr_workgroup_id_x 1
		.amdhsa_system_sgpr_workgroup_id_y 0
		.amdhsa_system_sgpr_workgroup_id_z 0
		.amdhsa_system_sgpr_workgroup_info 0
		.amdhsa_system_vgpr_workitem_id 0
		.amdhsa_next_free_vgpr 34
		.amdhsa_next_free_sgpr 26
		.amdhsa_reserve_vcc 1
		.amdhsa_float_round_mode_32 0
		.amdhsa_float_round_mode_16_64 0
		.amdhsa_float_denorm_mode_32 3
		.amdhsa_float_denorm_mode_16_64 3
		.amdhsa_dx10_clamp 1
		.amdhsa_ieee_mode 1
		.amdhsa_fp16_overflow 0
		.amdhsa_workgroup_processor_mode 1
		.amdhsa_memory_ordered 1
		.amdhsa_forward_progress 0
		.amdhsa_shared_vgpr_count 0
		.amdhsa_exception_fp_ieee_invalid_op 0
		.amdhsa_exception_fp_denorm_src 0
		.amdhsa_exception_fp_ieee_div_zero 0
		.amdhsa_exception_fp_ieee_overflow 0
		.amdhsa_exception_fp_ieee_underflow 0
		.amdhsa_exception_fp_ieee_inexact 0
		.amdhsa_exception_int_div_zero 0
	.end_amdhsa_kernel
	.section	.text._ZN7rocprim17ROCPRIM_304000_NS6detail18single_scan_kernelILb0ENS1_19wrapped_scan_configINS0_14default_configEN3c104HalfEEEPKS6_PS6_St10multipliesIS6_ES6_S6_EEvT1_mT4_T2_T3_,"axG",@progbits,_ZN7rocprim17ROCPRIM_304000_NS6detail18single_scan_kernelILb0ENS1_19wrapped_scan_configINS0_14default_configEN3c104HalfEEEPKS6_PS6_St10multipliesIS6_ES6_S6_EEvT1_mT4_T2_T3_,comdat
.Lfunc_end86:
	.size	_ZN7rocprim17ROCPRIM_304000_NS6detail18single_scan_kernelILb0ENS1_19wrapped_scan_configINS0_14default_configEN3c104HalfEEEPKS6_PS6_St10multipliesIS6_ES6_S6_EEvT1_mT4_T2_T3_, .Lfunc_end86-_ZN7rocprim17ROCPRIM_304000_NS6detail18single_scan_kernelILb0ENS1_19wrapped_scan_configINS0_14default_configEN3c104HalfEEEPKS6_PS6_St10multipliesIS6_ES6_S6_EEvT1_mT4_T2_T3_
                                        ; -- End function
	.section	.AMDGPU.csdata,"",@progbits
; Kernel info:
; codeLenInByte = 3276
; NumSgprs: 28
; NumVgprs: 34
; ScratchSize: 0
; MemoryBound: 0
; FloatMode: 240
; IeeeMode: 1
; LDSByteSize: 2816 bytes/workgroup (compile time only)
; SGPRBlocks: 3
; VGPRBlocks: 4
; NumSGPRsForWavesPerEU: 28
; NumVGPRsForWavesPerEU: 34
; Occupancy: 16
; WaveLimiterHint : 0
; COMPUTE_PGM_RSRC2:SCRATCH_EN: 0
; COMPUTE_PGM_RSRC2:USER_SGPR: 15
; COMPUTE_PGM_RSRC2:TRAP_HANDLER: 0
; COMPUTE_PGM_RSRC2:TGID_X_EN: 1
; COMPUTE_PGM_RSRC2:TGID_Y_EN: 0
; COMPUTE_PGM_RSRC2:TGID_Z_EN: 0
; COMPUTE_PGM_RSRC2:TIDIG_COMP_CNT: 0
	.section	.text._ZN2at6native32tensor_kernel_scan_innermost_dimIN3c104HalfESt10multipliesIS3_EEEvPT_PKS6_jjjS6_T0_,"axG",@progbits,_ZN2at6native32tensor_kernel_scan_innermost_dimIN3c104HalfESt10multipliesIS3_EEEvPT_PKS6_jjjS6_T0_,comdat
	.protected	_ZN2at6native32tensor_kernel_scan_innermost_dimIN3c104HalfESt10multipliesIS3_EEEvPT_PKS6_jjjS6_T0_ ; -- Begin function _ZN2at6native32tensor_kernel_scan_innermost_dimIN3c104HalfESt10multipliesIS3_EEEvPT_PKS6_jjjS6_T0_
	.globl	_ZN2at6native32tensor_kernel_scan_innermost_dimIN3c104HalfESt10multipliesIS3_EEEvPT_PKS6_jjjS6_T0_
	.p2align	8
	.type	_ZN2at6native32tensor_kernel_scan_innermost_dimIN3c104HalfESt10multipliesIS3_EEEvPT_PKS6_jjjS6_T0_,@function
_ZN2at6native32tensor_kernel_scan_innermost_dimIN3c104HalfESt10multipliesIS3_EEEvPT_PKS6_jjjS6_T0_: ; @_ZN2at6native32tensor_kernel_scan_innermost_dimIN3c104HalfESt10multipliesIS3_EEEvPT_PKS6_jjjS6_T0_
; %bb.0:
	s_load_b256 s[16:23], s[0:1], 0x0
	v_bfe_u32 v9, v0, 10, 10
	s_waitcnt lgkmcnt(0)
	s_lshl_b32 s5, 2, s22
	s_mul_hi_u32 s2, s20, s21
	s_delay_alu instid0(VALU_DEP_1) | instskip(SKIP_3) | instid1(VALU_DEP_1)
	v_mul_lo_u32 v1, s5, v9
	s_mov_b32 s6, s20
	s_cmp_lg_u32 s2, 0
	s_mov_b32 s2, -1
	v_lshl_add_u32 v10, v1, 1, 0
	s_cbranch_scc1 .LBB87_26
; %bb.1:
	s_load_b32 s4, s[0:1], 0x2c
	s_add_u32 s2, s0, 32
	s_addc_u32 s3, s1, 0
	s_waitcnt lgkmcnt(0)
	s_lshr_b32 s4, s4, 16
	s_delay_alu instid0(SALU_CYCLE_1) | instskip(NEXT) | instid1(SALU_CYCLE_1)
	s_mul_i32 s7, s15, s4
	s_cmp_ge_u32 s7, s20
	s_cbranch_scc1 .LBB87_25
; %bb.2:
	s_load_b32 s10, s[2:3], 0x0
	v_dual_mov_b32 v2, 0 :: v_dual_and_b32 v5, 0x3ff, v0
	v_add_nc_u32_e32 v6, -2, v10
	s_lshl_b32 s8, 1, s22
	s_cmp_lg_u32 s21, 0
	s_delay_alu instid0(VALU_DEP_2)
	v_lshl_add_u32 v7, v5, 1, v10
	v_cmp_eq_u32_e64 s2, 0, v5
	v_lshl_add_u32 v8, s5, 1, v6
	s_cselect_b32 s9, -1, 0
	s_add_i32 s11, s22, 1
	v_lshl_add_u32 v11, s8, 1, v7
	s_waitcnt lgkmcnt(0)
	s_mul_i32 s10, s10, s4
	s_branch .LBB87_4
.LBB87_3:                               ;   in Loop: Header=BB87_4 Depth=1
	s_add_i32 s7, s7, s10
	s_delay_alu instid0(SALU_CYCLE_1)
	s_cmp_ge_u32 s7, s20
	s_cbranch_scc1 .LBB87_25
.LBB87_4:                               ; =>This Loop Header: Depth=1
                                        ;     Child Loop BB87_7 Depth 2
                                        ;       Child Loop BB87_16 Depth 3
	s_and_not1_b32 vcc_lo, exec_lo, s9
	s_cbranch_vccnz .LBB87_3
; %bb.5:                                ;   in Loop: Header=BB87_4 Depth=1
	v_add_nc_u32_e32 v12, s7, v9
	v_mov_b32_e32 v16, s23
	s_mov_b32 s12, 0
	s_delay_alu instid0(VALU_DEP_2) | instskip(SKIP_2) | instid1(VALU_DEP_3)
	v_mul_lo_u32 v1, v12, s21
	v_cmp_gt_u32_e32 vcc_lo, s20, v12
	v_cmp_le_u32_e64 s3, s20, v12
	v_lshlrev_b64 v[3:4], 1, v[1:2]
	s_delay_alu instid0(VALU_DEP_1) | instskip(NEXT) | instid1(VALU_DEP_1)
	v_add_co_u32 v12, s4, s18, v3
	v_add_co_ci_u32_e64 v13, s4, s19, v4, s4
	v_add_co_u32 v14, s4, s16, v3
	s_delay_alu instid0(VALU_DEP_1)
	v_add_co_ci_u32_e64 v15, s4, s17, v4, s4
	s_branch .LBB87_7
.LBB87_6:                               ;   in Loop: Header=BB87_7 Depth=2
	s_or_b32 exec_lo, exec_lo, s13
	ds_load_u16 v16, v8
	s_add_i32 s12, s12, s5
	s_waitcnt lgkmcnt(0)
	s_waitcnt_vscnt null, 0x0
	s_cmp_ge_u32 s12, s21
	s_barrier
	buffer_gl0_inv
	s_cbranch_scc1 .LBB87_3
.LBB87_7:                               ;   Parent Loop BB87_4 Depth=1
                                        ; =>  This Loop Header: Depth=2
                                        ;       Child Loop BB87_16 Depth 3
	v_add_nc_u32_e32 v1, s12, v5
	s_delay_alu instid0(VALU_DEP_1)
	v_add_nc_u32_e32 v3, s8, v1
	s_and_saveexec_b32 s13, vcc_lo
	s_cbranch_execz .LBB87_14
; %bb.8:                                ;   in Loop: Header=BB87_7 Depth=2
	v_mov_b32_e32 v4, s23
	s_mov_b32 s14, exec_lo
	v_cmpx_gt_u32_e64 s21, v1
	s_cbranch_execz .LBB87_10
; %bb.9:                                ;   in Loop: Header=BB87_7 Depth=2
	v_lshlrev_b64 v[17:18], 1, v[1:2]
	s_delay_alu instid0(VALU_DEP_1) | instskip(NEXT) | instid1(VALU_DEP_1)
	v_add_co_u32 v17, s4, v12, v17
	v_add_co_ci_u32_e64 v18, s4, v13, v18, s4
	global_load_u16 v4, v[17:18], off
.LBB87_10:                              ;   in Loop: Header=BB87_7 Depth=2
	s_or_b32 exec_lo, exec_lo, s14
	v_mov_b32_e32 v17, s23
	s_mov_b32 s14, exec_lo
	s_waitcnt vmcnt(0)
	ds_store_b16 v7, v4
	v_cmpx_gt_u32_e64 s21, v3
	s_cbranch_execz .LBB87_12
; %bb.11:                               ;   in Loop: Header=BB87_7 Depth=2
	v_mov_b32_e32 v4, v2
	s_delay_alu instid0(VALU_DEP_1) | instskip(NEXT) | instid1(VALU_DEP_1)
	v_lshlrev_b64 v[17:18], 1, v[3:4]
	v_add_co_u32 v17, s4, v12, v17
	s_delay_alu instid0(VALU_DEP_1)
	v_add_co_ci_u32_e64 v18, s4, v13, v18, s4
	global_load_u16 v17, v[17:18], off
.LBB87_12:                              ;   in Loop: Header=BB87_7 Depth=2
	s_or_b32 exec_lo, exec_lo, s14
	s_waitcnt vmcnt(0)
	ds_store_b16 v11, v17
	s_and_b32 exec_lo, exec_lo, s2
	s_cbranch_execz .LBB87_14
; %bb.13:                               ;   in Loop: Header=BB87_7 Depth=2
	ds_load_u16 v4, v10
	s_waitcnt lgkmcnt(0)
	v_mul_f16_e32 v4, v4, v16
	ds_store_b16 v10, v4
.LBB87_14:                              ;   in Loop: Header=BB87_7 Depth=2
	s_or_b32 exec_lo, exec_lo, s13
	v_mov_b32_e32 v4, 0
	s_mov_b32 s13, 0
	s_waitcnt lgkmcnt(0)
	s_barrier
	buffer_gl0_inv
	s_set_inst_prefetch_distance 0x1
	s_branch .LBB87_16
	.p2align	6
.LBB87_15:                              ;   in Loop: Header=BB87_16 Depth=3
	s_or_b32 exec_lo, exec_lo, s4
	s_delay_alu instid0(VALU_DEP_1) | instskip(SKIP_4) | instid1(SALU_CYCLE_1)
	v_cmp_eq_u32_e64 s4, s11, v4
	s_waitcnt lgkmcnt(0)
	s_barrier
	buffer_gl0_inv
	s_or_b32 s13, s4, s13
	s_and_not1_b32 exec_lo, exec_lo, s13
	s_cbranch_execz .LBB87_20
.LBB87_16:                              ;   Parent Loop BB87_4 Depth=1
                                        ;     Parent Loop BB87_7 Depth=2
                                        ; =>    This Inner Loop Header: Depth=3
	v_add_nc_u32_e32 v16, 1, v4
	s_and_saveexec_b32 s4, s3
	s_delay_alu instid0(SALU_CYCLE_1)
	s_xor_b32 s4, exec_lo, s4
; %bb.17:                               ;   in Loop: Header=BB87_16 Depth=3
	v_add_nc_u32_e32 v4, 1, v4
                                        ; implicit-def: $vgpr16
; %bb.18:                               ;   in Loop: Header=BB87_16 Depth=3
	s_and_not1_saveexec_b32 s4, s4
	s_cbranch_execz .LBB87_15
; %bb.19:                               ;   in Loop: Header=BB87_16 Depth=3
	s_delay_alu instid0(VALU_DEP_1) | instskip(SKIP_2) | instid1(VALU_DEP_2)
	v_lshlrev_b32_e64 v17, v4, 1
	v_lshrrev_b32_e32 v18, v4, v5
	v_bfm_b32 v4, v4, 0
	v_lshl_or_b32 v17, v18, v16, v17
	s_delay_alu instid0(VALU_DEP_2) | instskip(NEXT) | instid1(VALU_DEP_2)
	v_and_b32_e32 v4, v4, v5
	v_lshlrev_b32_e32 v17, 1, v17
	s_delay_alu instid0(VALU_DEP_2) | instskip(NEXT) | instid1(VALU_DEP_1)
	v_lshlrev_b32_e32 v4, 1, v4
	v_add3_u32 v18, v10, v17, v4
	v_add_nc_u32_e32 v4, v6, v17
	ds_load_u16 v17, v18
	ds_load_u16 v4, v4
	s_waitcnt lgkmcnt(0)
	v_mul_f16_e32 v17, v17, v4
	v_mov_b32_e32 v4, v16
	ds_store_b16 v18, v17
	s_branch .LBB87_15
.LBB87_20:                              ;   in Loop: Header=BB87_7 Depth=2
	s_set_inst_prefetch_distance 0x2
	s_or_b32 exec_lo, exec_lo, s13
	s_and_saveexec_b32 s13, vcc_lo
	s_cbranch_execz .LBB87_6
; %bb.21:                               ;   in Loop: Header=BB87_7 Depth=2
	s_mov_b32 s14, exec_lo
	v_cmpx_gt_u32_e64 s21, v1
	s_cbranch_execz .LBB87_23
; %bb.22:                               ;   in Loop: Header=BB87_7 Depth=2
	ds_load_u16 v4, v7
	v_lshlrev_b64 v[16:17], 1, v[1:2]
	s_delay_alu instid0(VALU_DEP_1) | instskip(NEXT) | instid1(VALU_DEP_1)
	v_add_co_u32 v16, s4, v14, v16
	v_add_co_ci_u32_e64 v17, s4, v15, v17, s4
	s_waitcnt lgkmcnt(0)
	global_store_b16 v[16:17], v4, off
.LBB87_23:                              ;   in Loop: Header=BB87_7 Depth=2
	s_or_b32 exec_lo, exec_lo, s14
	v_cmp_gt_u32_e64 s4, s21, v3
	s_delay_alu instid0(VALU_DEP_1)
	s_and_b32 exec_lo, exec_lo, s4
	s_cbranch_execz .LBB87_6
; %bb.24:                               ;   in Loop: Header=BB87_7 Depth=2
	ds_load_u16 v1, v11
	v_mov_b32_e32 v4, v2
	s_delay_alu instid0(VALU_DEP_1) | instskip(NEXT) | instid1(VALU_DEP_1)
	v_lshlrev_b64 v[3:4], 1, v[3:4]
	v_add_co_u32 v3, s4, v14, v3
	s_delay_alu instid0(VALU_DEP_1)
	v_add_co_ci_u32_e64 v4, s4, v15, v4, s4
	s_waitcnt lgkmcnt(0)
	global_store_b16 v[3:4], v1, off
	s_branch .LBB87_6
.LBB87_25:
	s_mov_b32 s2, 0
.LBB87_26:
	s_delay_alu instid0(SALU_CYCLE_1)
	s_and_not1_b32 vcc_lo, exec_lo, s2
	s_cbranch_vccnz .LBB87_53
; %bb.27:
	s_load_b32 s2, s[0:1], 0x2c
	s_add_u32 s0, s0, 32
	s_addc_u32 s1, s1, 0
	s_mov_b32 s7, 0
	s_waitcnt lgkmcnt(0)
	s_lshr_b32 s2, s2, 16
	s_delay_alu instid0(SALU_CYCLE_1) | instskip(SKIP_1) | instid1(SALU_CYCLE_1)
	s_mul_hi_u32 s5, s2, s15
	s_mul_i32 s4, s2, s15
	v_cmp_ge_u64_e64 s3, s[4:5], s[6:7]
	s_delay_alu instid0(VALU_DEP_1)
	s_and_b32 vcc_lo, exec_lo, s3
	s_cbranch_vccnz .LBB87_53
; %bb.28:
	s_load_b32 s1, s[0:1], 0x0
	v_dual_mov_b32 v1, 0 :: v_dual_and_b32 v0, 0x3ff, v0
	s_lshl_b32 s8, 1, s22
	s_and_b32 s2, 0xffff, s2
	s_ashr_i32 s9, s8, 31
	s_cmp_lg_u32 s21, 0
	v_lshl_add_u32 v11, v0, 1, v10
	s_cselect_b32 s3, -1, 0
	s_lshl_b64 s[12:13], s[8:9], 1
	v_cmp_eq_u32_e64 s0, 0, v0
	s_lshl_b32 s11, s12, 1
	v_lshl_add_u32 v13, s8, 1, v11
	v_add3_u32 v12, v10, s11, -2
	s_mov_b32 s10, s21
	s_mov_b32 s11, s7
	s_add_i32 s21, s22, 1
	s_waitcnt lgkmcnt(0)
	s_mul_i32 s20, s1, s2
	s_branch .LBB87_30
.LBB87_29:                              ;   in Loop: Header=BB87_30 Depth=1
	s_add_u32 s4, s4, s20
	s_addc_u32 s5, s5, 0
	s_delay_alu instid0(SALU_CYCLE_1) | instskip(NEXT) | instid1(VALU_DEP_1)
	v_cmp_ge_u64_e64 s1, s[4:5], s[6:7]
	s_and_b32 vcc_lo, exec_lo, s1
	s_cbranch_vccnz .LBB87_53
.LBB87_30:                              ; =>This Loop Header: Depth=1
                                        ;     Child Loop BB87_33 Depth 2
                                        ;       Child Loop BB87_43 Depth 3
	s_and_not1_b32 vcc_lo, exec_lo, s3
	s_cbranch_vccnz .LBB87_29
; %bb.31:                               ;   in Loop: Header=BB87_30 Depth=1
	v_add_co_u32 v2, s1, s4, v9
	s_delay_alu instid0(VALU_DEP_1) | instskip(SKIP_1) | instid1(VALU_DEP_2)
	v_add_co_ci_u32_e64 v3, null, s5, 0, s1
	s_mov_b64 s[14:15], 0
	v_mad_u64_u32 v[4:5], null, v2, s10, 0
	s_delay_alu instid0(VALU_DEP_2) | instskip(SKIP_1) | instid1(VALU_DEP_3)
	v_cmp_gt_u64_e64 s1, s[6:7], v[2:3]
	v_cmp_le_u64_e64 s2, s[6:7], v[2:3]
	v_mad_u64_u32 v[6:7], null, v3, s10, v[5:6]
	s_delay_alu instid0(VALU_DEP_1) | instskip(NEXT) | instid1(VALU_DEP_1)
	v_dual_mov_b32 v5, v6 :: v_dual_mov_b32 v6, s23
	v_lshlrev_b64 v[4:5], 1, v[4:5]
	s_delay_alu instid0(VALU_DEP_1) | instskip(NEXT) | instid1(VALU_DEP_2)
	v_add_co_u32 v14, vcc_lo, s18, v4
	v_add_co_ci_u32_e32 v15, vcc_lo, s19, v5, vcc_lo
	v_add_co_u32 v16, vcc_lo, s16, v4
	v_add_co_ci_u32_e32 v17, vcc_lo, s17, v5, vcc_lo
	s_branch .LBB87_33
.LBB87_32:                              ;   in Loop: Header=BB87_33 Depth=2
	s_or_b32 exec_lo, exec_lo, s22
	ds_load_u16 v6, v12
	s_add_u32 s14, s14, s12
	s_addc_u32 s15, s15, s13
	s_waitcnt lgkmcnt(0)
	s_waitcnt_vscnt null, 0x0
	v_cmp_ge_u64_e64 s22, s[14:15], s[10:11]
	s_barrier
	buffer_gl0_inv
	s_and_b32 vcc_lo, exec_lo, s22
	s_cbranch_vccnz .LBB87_29
.LBB87_33:                              ;   Parent Loop BB87_30 Depth=1
                                        ; =>  This Loop Header: Depth=2
                                        ;       Child Loop BB87_43 Depth 3
	v_add_co_u32 v4, s22, s14, v0
	s_delay_alu instid0(VALU_DEP_1) | instskip(NEXT) | instid1(VALU_DEP_2)
	v_add_co_ci_u32_e64 v5, null, s15, 0, s22
	v_add_co_u32 v2, vcc_lo, v4, s8
	s_delay_alu instid0(VALU_DEP_2)
	v_add_co_ci_u32_e32 v3, vcc_lo, s9, v5, vcc_lo
	s_and_saveexec_b32 s22, s1
	s_cbranch_execz .LBB87_40
; %bb.34:                               ;   in Loop: Header=BB87_33 Depth=2
	v_mov_b32_e32 v7, s23
	s_mov_b32 s24, exec_lo
	v_cmpx_gt_u64_e64 s[10:11], v[4:5]
	s_cbranch_execz .LBB87_36
; %bb.35:                               ;   in Loop: Header=BB87_33 Depth=2
	v_lshlrev_b64 v[7:8], 1, v[4:5]
	s_delay_alu instid0(VALU_DEP_1) | instskip(NEXT) | instid1(VALU_DEP_2)
	v_add_co_u32 v7, vcc_lo, v14, v7
	v_add_co_ci_u32_e32 v8, vcc_lo, v15, v8, vcc_lo
	global_load_u16 v7, v[7:8], off
.LBB87_36:                              ;   in Loop: Header=BB87_33 Depth=2
	s_or_b32 exec_lo, exec_lo, s24
	v_mov_b32_e32 v8, s23
	s_mov_b32 s24, exec_lo
	s_waitcnt vmcnt(0)
	ds_store_b16 v11, v7
	v_cmpx_gt_u64_e64 s[10:11], v[2:3]
	s_cbranch_execz .LBB87_38
; %bb.37:                               ;   in Loop: Header=BB87_33 Depth=2
	v_lshlrev_b64 v[7:8], 1, v[2:3]
	s_delay_alu instid0(VALU_DEP_1) | instskip(NEXT) | instid1(VALU_DEP_2)
	v_add_co_u32 v7, vcc_lo, v14, v7
	v_add_co_ci_u32_e32 v8, vcc_lo, v15, v8, vcc_lo
	global_load_u16 v8, v[7:8], off
.LBB87_38:                              ;   in Loop: Header=BB87_33 Depth=2
	s_or_b32 exec_lo, exec_lo, s24
	s_waitcnt vmcnt(0)
	ds_store_b16 v13, v8
	s_and_b32 exec_lo, exec_lo, s0
	s_cbranch_execz .LBB87_40
; %bb.39:                               ;   in Loop: Header=BB87_33 Depth=2
	ds_load_u16 v7, v10
	s_waitcnt lgkmcnt(0)
	v_mul_f16_e32 v6, v7, v6
	ds_store_b16 v10, v6
.LBB87_40:                              ;   in Loop: Header=BB87_33 Depth=2
	s_or_b32 exec_lo, exec_lo, s22
	v_mov_b32_e32 v19, 0
	s_mov_b32 s22, 0
	s_waitcnt lgkmcnt(0)
	s_barrier
	buffer_gl0_inv
	s_branch .LBB87_43
.LBB87_41:                              ;   in Loop: Header=BB87_43 Depth=3
	s_or_b32 exec_lo, exec_lo, s25
	v_lshrrev_b32_e32 v8, v19, v0
	s_delay_alu instid0(VALU_DEP_1) | instskip(NEXT) | instid1(VALU_DEP_1)
	v_lshl_or_b32 v6, v8, v18, v6
	v_lshl_add_u32 v6, v6, 1, v10
	s_delay_alu instid0(VALU_DEP_1)
	v_lshl_add_u32 v7, v7, 1, v6
	v_add_nc_u32_e32 v6, -2, v6
	ds_load_u16 v8, v7
	ds_load_u16 v6, v6
	s_waitcnt lgkmcnt(0)
	v_mul_f16_e32 v6, v8, v6
	ds_store_b16 v7, v6
.LBB87_42:                              ;   in Loop: Header=BB87_43 Depth=3
	s_or_b32 exec_lo, exec_lo, s24
	s_delay_alu instid0(VALU_DEP_1)
	v_cmp_eq_u32_e32 vcc_lo, s21, v18
	v_mov_b32_e32 v19, v18
	s_waitcnt lgkmcnt(0)
	s_barrier
	buffer_gl0_inv
	s_or_b32 s22, vcc_lo, s22
	s_delay_alu instid0(SALU_CYCLE_1)
	s_and_not1_b32 exec_lo, exec_lo, s22
	s_cbranch_execz .LBB87_48
.LBB87_43:                              ;   Parent Loop BB87_30 Depth=1
                                        ;     Parent Loop BB87_33 Depth=2
                                        ; =>    This Inner Loop Header: Depth=3
	v_add_nc_u32_e32 v18, 1, v19
	s_and_saveexec_b32 s24, s2
	s_delay_alu instid0(SALU_CYCLE_1)
	s_xor_b32 s24, exec_lo, s24
; %bb.44:                               ;   in Loop: Header=BB87_43 Depth=3
	v_add_nc_u32_e32 v18, 1, v19
                                        ; implicit-def: $vgpr19
; %bb.45:                               ;   in Loop: Header=BB87_43 Depth=3
	s_and_not1_saveexec_b32 s24, s24
	s_cbranch_execz .LBB87_42
; %bb.46:                               ;   in Loop: Header=BB87_43 Depth=3
	v_lshlrev_b32_e64 v6, v19, 1
	s_delay_alu instid0(VALU_DEP_1) | instskip(NEXT) | instid1(VALU_DEP_1)
	v_ashrrev_i32_e32 v7, 31, v6
	v_cmp_ge_u64_e32 vcc_lo, v[0:1], v[6:7]
	v_dual_mov_b32 v8, v1 :: v_dual_mov_b32 v7, v0
	s_and_saveexec_b32 s25, vcc_lo
	s_cbranch_execz .LBB87_41
; %bb.47:                               ;   in Loop: Header=BB87_43 Depth=3
	v_cvt_f32_u32_e32 v7, v6
	v_sub_nc_u32_e32 v8, 0, v6
	s_delay_alu instid0(VALU_DEP_2) | instskip(SKIP_2) | instid1(VALU_DEP_1)
	v_rcp_iflag_f32_e32 v7, v7
	s_waitcnt_depctr 0xfff
	v_mul_f32_e32 v7, 0x4f7ffffe, v7
	v_cvt_u32_f32_e32 v7, v7
	s_delay_alu instid0(VALU_DEP_1) | instskip(NEXT) | instid1(VALU_DEP_1)
	v_mul_lo_u32 v8, v8, v7
	v_mul_hi_u32 v8, v7, v8
	s_delay_alu instid0(VALU_DEP_1) | instskip(NEXT) | instid1(VALU_DEP_1)
	v_add_nc_u32_e32 v7, v7, v8
	v_mul_hi_u32 v7, v0, v7
	s_delay_alu instid0(VALU_DEP_1) | instskip(NEXT) | instid1(VALU_DEP_1)
	v_mul_lo_u32 v7, v7, v6
	v_sub_nc_u32_e32 v7, v0, v7
	s_delay_alu instid0(VALU_DEP_1) | instskip(SKIP_1) | instid1(VALU_DEP_2)
	v_sub_nc_u32_e32 v8, v7, v6
	v_cmp_ge_u32_e32 vcc_lo, v7, v6
	v_cndmask_b32_e32 v7, v7, v8, vcc_lo
	s_delay_alu instid0(VALU_DEP_1) | instskip(SKIP_1) | instid1(VALU_DEP_2)
	v_sub_nc_u32_e32 v8, v7, v6
	v_cmp_ge_u32_e32 vcc_lo, v7, v6
	v_cndmask_b32_e32 v7, v7, v8, vcc_lo
	s_branch .LBB87_41
.LBB87_48:                              ;   in Loop: Header=BB87_33 Depth=2
	s_or_b32 exec_lo, exec_lo, s22
	s_and_saveexec_b32 s22, s1
	s_cbranch_execz .LBB87_32
; %bb.49:                               ;   in Loop: Header=BB87_33 Depth=2
	s_mov_b32 s24, exec_lo
	v_cmpx_gt_u64_e64 s[10:11], v[4:5]
	s_cbranch_execz .LBB87_51
; %bb.50:                               ;   in Loop: Header=BB87_33 Depth=2
	ds_load_u16 v6, v11
	v_lshlrev_b64 v[4:5], 1, v[4:5]
	s_delay_alu instid0(VALU_DEP_1) | instskip(NEXT) | instid1(VALU_DEP_2)
	v_add_co_u32 v4, vcc_lo, v16, v4
	v_add_co_ci_u32_e32 v5, vcc_lo, v17, v5, vcc_lo
	s_waitcnt lgkmcnt(0)
	global_store_b16 v[4:5], v6, off
.LBB87_51:                              ;   in Loop: Header=BB87_33 Depth=2
	s_or_b32 exec_lo, exec_lo, s24
	v_cmp_gt_u64_e32 vcc_lo, s[10:11], v[2:3]
	s_and_b32 exec_lo, exec_lo, vcc_lo
	s_cbranch_execz .LBB87_32
; %bb.52:                               ;   in Loop: Header=BB87_33 Depth=2
	ds_load_u16 v4, v13
	v_lshlrev_b64 v[2:3], 1, v[2:3]
	s_delay_alu instid0(VALU_DEP_1) | instskip(NEXT) | instid1(VALU_DEP_2)
	v_add_co_u32 v2, vcc_lo, v16, v2
	v_add_co_ci_u32_e32 v3, vcc_lo, v17, v3, vcc_lo
	s_waitcnt lgkmcnt(0)
	global_store_b16 v[2:3], v4, off
	s_branch .LBB87_32
.LBB87_53:
	s_endpgm
	.section	.rodata,"a",@progbits
	.p2align	6, 0x0
	.amdhsa_kernel _ZN2at6native32tensor_kernel_scan_innermost_dimIN3c104HalfESt10multipliesIS3_EEEvPT_PKS6_jjjS6_T0_
		.amdhsa_group_segment_fixed_size 0
		.amdhsa_private_segment_fixed_size 0
		.amdhsa_kernarg_size 288
		.amdhsa_user_sgpr_count 15
		.amdhsa_user_sgpr_dispatch_ptr 0
		.amdhsa_user_sgpr_queue_ptr 0
		.amdhsa_user_sgpr_kernarg_segment_ptr 1
		.amdhsa_user_sgpr_dispatch_id 0
		.amdhsa_user_sgpr_private_segment_size 0
		.amdhsa_wavefront_size32 1
		.amdhsa_uses_dynamic_stack 0
		.amdhsa_enable_private_segment 0
		.amdhsa_system_sgpr_workgroup_id_x 1
		.amdhsa_system_sgpr_workgroup_id_y 0
		.amdhsa_system_sgpr_workgroup_id_z 0
		.amdhsa_system_sgpr_workgroup_info 0
		.amdhsa_system_vgpr_workitem_id 1
		.amdhsa_next_free_vgpr 20
		.amdhsa_next_free_sgpr 26
		.amdhsa_reserve_vcc 1
		.amdhsa_float_round_mode_32 0
		.amdhsa_float_round_mode_16_64 0
		.amdhsa_float_denorm_mode_32 3
		.amdhsa_float_denorm_mode_16_64 3
		.amdhsa_dx10_clamp 1
		.amdhsa_ieee_mode 1
		.amdhsa_fp16_overflow 0
		.amdhsa_workgroup_processor_mode 1
		.amdhsa_memory_ordered 1
		.amdhsa_forward_progress 0
		.amdhsa_shared_vgpr_count 0
		.amdhsa_exception_fp_ieee_invalid_op 0
		.amdhsa_exception_fp_denorm_src 0
		.amdhsa_exception_fp_ieee_div_zero 0
		.amdhsa_exception_fp_ieee_overflow 0
		.amdhsa_exception_fp_ieee_underflow 0
		.amdhsa_exception_fp_ieee_inexact 0
		.amdhsa_exception_int_div_zero 0
	.end_amdhsa_kernel
	.section	.text._ZN2at6native32tensor_kernel_scan_innermost_dimIN3c104HalfESt10multipliesIS3_EEEvPT_PKS6_jjjS6_T0_,"axG",@progbits,_ZN2at6native32tensor_kernel_scan_innermost_dimIN3c104HalfESt10multipliesIS3_EEEvPT_PKS6_jjjS6_T0_,comdat
.Lfunc_end87:
	.size	_ZN2at6native32tensor_kernel_scan_innermost_dimIN3c104HalfESt10multipliesIS3_EEEvPT_PKS6_jjjS6_T0_, .Lfunc_end87-_ZN2at6native32tensor_kernel_scan_innermost_dimIN3c104HalfESt10multipliesIS3_EEEvPT_PKS6_jjjS6_T0_
                                        ; -- End function
	.section	.AMDGPU.csdata,"",@progbits
; Kernel info:
; codeLenInByte = 2008
; NumSgprs: 28
; NumVgprs: 20
; ScratchSize: 0
; MemoryBound: 0
; FloatMode: 240
; IeeeMode: 1
; LDSByteSize: 0 bytes/workgroup (compile time only)
; SGPRBlocks: 3
; VGPRBlocks: 2
; NumSGPRsForWavesPerEU: 28
; NumVGPRsForWavesPerEU: 20
; Occupancy: 16
; WaveLimiterHint : 0
; COMPUTE_PGM_RSRC2:SCRATCH_EN: 0
; COMPUTE_PGM_RSRC2:USER_SGPR: 15
; COMPUTE_PGM_RSRC2:TRAP_HANDLER: 0
; COMPUTE_PGM_RSRC2:TGID_X_EN: 1
; COMPUTE_PGM_RSRC2:TGID_Y_EN: 0
; COMPUTE_PGM_RSRC2:TGID_Z_EN: 0
; COMPUTE_PGM_RSRC2:TIDIG_COMP_CNT: 1
	.section	.text._ZN2at6native28tensor_kernel_scan_outer_dimIN3c104HalfEjSt10multipliesIS3_EEEvPT_PKS6_jjjS6_T1_,"axG",@progbits,_ZN2at6native28tensor_kernel_scan_outer_dimIN3c104HalfEjSt10multipliesIS3_EEEvPT_PKS6_jjjS6_T1_,comdat
	.protected	_ZN2at6native28tensor_kernel_scan_outer_dimIN3c104HalfEjSt10multipliesIS3_EEEvPT_PKS6_jjjS6_T1_ ; -- Begin function _ZN2at6native28tensor_kernel_scan_outer_dimIN3c104HalfEjSt10multipliesIS3_EEEvPT_PKS6_jjjS6_T1_
	.globl	_ZN2at6native28tensor_kernel_scan_outer_dimIN3c104HalfEjSt10multipliesIS3_EEEvPT_PKS6_jjjS6_T1_
	.p2align	8
	.type	_ZN2at6native28tensor_kernel_scan_outer_dimIN3c104HalfEjSt10multipliesIS3_EEEvPT_PKS6_jjjS6_T1_,@function
_ZN2at6native28tensor_kernel_scan_outer_dimIN3c104HalfEjSt10multipliesIS3_EEEvPT_PKS6_jjjS6_T1_: ; @_ZN2at6native28tensor_kernel_scan_outer_dimIN3c104HalfEjSt10multipliesIS3_EEEvPT_PKS6_jjjS6_T1_
; %bb.0:
	s_load_b128 s[4:7], s[0:1], 0x10
	s_waitcnt lgkmcnt(0)
	s_cmp_ge_u32 s14, s4
	s_cbranch_scc1 .LBB88_9
; %bb.1:
	s_clause 0x2
	s_load_b32 s12, s[0:1], 0x2c
	s_load_b32 s20, s[0:1], 0x20
	s_load_b128 s[8:11], s[0:1], 0x0
	s_add_u32 s2, s0, 32
	s_addc_u32 s3, s1, 0
	s_mul_i32 s0, s14, s6
	v_mov_b32_e32 v3, 0
	s_mul_i32 s18, s0, s5
	s_mov_b32 s13, 0
	s_waitcnt lgkmcnt(0)
	s_and_b32 s1, s12, 0xffff
	s_mov_b32 s12, s5
	v_mad_u64_u32 v[1:2], null, s15, s1, v[0:1]
	s_cmp_lg_u32 s6, 0
	s_mul_i32 s21, s20, s6
	s_cselect_b32 s15, -1, 0
	s_mul_i32 s21, s21, s5
	s_lshl_b64 s[16:17], s[12:13], 1
	s_mov_b32 s12, s18
	s_delay_alu instid0(VALU_DEP_1)
	v_cmp_gt_u32_e64 s0, s5, v1
	s_set_inst_prefetch_distance 0x1
	s_branch .LBB88_3
	.p2align	6
.LBB88_2:                               ;   in Loop: Header=BB88_3 Depth=1
	s_or_b32 exec_lo, exec_lo, s22
	s_add_i32 s14, s20, s14
	s_add_i32 s12, s12, s21
	s_cmp_ge_u32 s14, s4
	s_cbranch_scc1 .LBB88_9
.LBB88_3:                               ; =>This Loop Header: Depth=1
                                        ;     Child Loop BB88_6 Depth 2
                                        ;       Child Loop BB88_8 Depth 3
	s_delay_alu instid0(VALU_DEP_1)
	s_and_saveexec_b32 s22, s0
	s_cbranch_execz .LBB88_2
; %bb.4:                                ;   in Loop: Header=BB88_3 Depth=1
	s_load_b32 s23, s[2:3], 0x4
	v_mov_b32_e32 v2, v1
	s_lshl_b64 s[18:19], s[12:13], 1
	s_mov_b32 s24, 0
	s_waitcnt lgkmcnt(0)
	s_mul_i32 s23, s23, s1
	s_branch .LBB88_6
	.p2align	6
.LBB88_5:                               ;   in Loop: Header=BB88_6 Depth=2
	v_add_nc_u32_e32 v2, s23, v2
	s_delay_alu instid0(VALU_DEP_1) | instskip(SKIP_1) | instid1(SALU_CYCLE_1)
	v_cmp_le_u32_e32 vcc_lo, s5, v2
	s_or_b32 s24, vcc_lo, s24
	s_and_not1_b32 exec_lo, exec_lo, s24
	s_cbranch_execz .LBB88_2
.LBB88_6:                               ;   Parent Loop BB88_3 Depth=1
                                        ; =>  This Loop Header: Depth=2
                                        ;       Child Loop BB88_8 Depth 3
	s_and_not1_b32 vcc_lo, exec_lo, s15
	s_cbranch_vccnz .LBB88_5
; %bb.7:                                ;   in Loop: Header=BB88_6 Depth=2
	v_lshlrev_b64 v[4:5], 1, v[2:3]
	s_mov_b32 s25, s6
	s_delay_alu instid0(VALU_DEP_1) | instskip(NEXT) | instid1(VALU_DEP_2)
	v_add_co_u32 v0, vcc_lo, s18, v4
	v_add_co_ci_u32_e32 v4, vcc_lo, s19, v5, vcc_lo
	v_mov_b32_e32 v5, s7
	.p2align	6
.LBB88_8:                               ;   Parent Loop BB88_3 Depth=1
                                        ;     Parent Loop BB88_6 Depth=2
                                        ; =>    This Inner Loop Header: Depth=3
	s_delay_alu instid0(VALU_DEP_3) | instskip(NEXT) | instid1(VALU_DEP_3)
	v_add_co_u32 v6, vcc_lo, s10, v0
	v_add_co_ci_u32_e32 v7, vcc_lo, s11, v4, vcc_lo
	s_add_i32 s25, s25, -1
	s_delay_alu instid0(SALU_CYCLE_1)
	s_cmp_eq_u32 s25, 0
	global_load_u16 v8, v[6:7], off
	v_add_co_u32 v6, vcc_lo, s8, v0
	v_add_co_ci_u32_e32 v7, vcc_lo, s9, v4, vcc_lo
	v_add_co_u32 v0, vcc_lo, v0, s16
	v_add_co_ci_u32_e32 v4, vcc_lo, s17, v4, vcc_lo
	s_waitcnt vmcnt(0)
	v_mul_f16_e32 v5, v8, v5
	global_store_b16 v[6:7], v5, off
	s_cbranch_scc0 .LBB88_8
	s_branch .LBB88_5
.LBB88_9:
	s_set_inst_prefetch_distance 0x2
	s_nop 0
	s_sendmsg sendmsg(MSG_DEALLOC_VGPRS)
	s_endpgm
	.section	.rodata,"a",@progbits
	.p2align	6, 0x0
	.amdhsa_kernel _ZN2at6native28tensor_kernel_scan_outer_dimIN3c104HalfEjSt10multipliesIS3_EEEvPT_PKS6_jjjS6_T1_
		.amdhsa_group_segment_fixed_size 0
		.amdhsa_private_segment_fixed_size 0
		.amdhsa_kernarg_size 288
		.amdhsa_user_sgpr_count 14
		.amdhsa_user_sgpr_dispatch_ptr 0
		.amdhsa_user_sgpr_queue_ptr 0
		.amdhsa_user_sgpr_kernarg_segment_ptr 1
		.amdhsa_user_sgpr_dispatch_id 0
		.amdhsa_user_sgpr_private_segment_size 0
		.amdhsa_wavefront_size32 1
		.amdhsa_uses_dynamic_stack 0
		.amdhsa_enable_private_segment 0
		.amdhsa_system_sgpr_workgroup_id_x 1
		.amdhsa_system_sgpr_workgroup_id_y 1
		.amdhsa_system_sgpr_workgroup_id_z 0
		.amdhsa_system_sgpr_workgroup_info 0
		.amdhsa_system_vgpr_workitem_id 0
		.amdhsa_next_free_vgpr 9
		.amdhsa_next_free_sgpr 26
		.amdhsa_reserve_vcc 1
		.amdhsa_float_round_mode_32 0
		.amdhsa_float_round_mode_16_64 0
		.amdhsa_float_denorm_mode_32 3
		.amdhsa_float_denorm_mode_16_64 3
		.amdhsa_dx10_clamp 1
		.amdhsa_ieee_mode 1
		.amdhsa_fp16_overflow 0
		.amdhsa_workgroup_processor_mode 1
		.amdhsa_memory_ordered 1
		.amdhsa_forward_progress 0
		.amdhsa_shared_vgpr_count 0
		.amdhsa_exception_fp_ieee_invalid_op 0
		.amdhsa_exception_fp_denorm_src 0
		.amdhsa_exception_fp_ieee_div_zero 0
		.amdhsa_exception_fp_ieee_overflow 0
		.amdhsa_exception_fp_ieee_underflow 0
		.amdhsa_exception_fp_ieee_inexact 0
		.amdhsa_exception_int_div_zero 0
	.end_amdhsa_kernel
	.section	.text._ZN2at6native28tensor_kernel_scan_outer_dimIN3c104HalfEjSt10multipliesIS3_EEEvPT_PKS6_jjjS6_T1_,"axG",@progbits,_ZN2at6native28tensor_kernel_scan_outer_dimIN3c104HalfEjSt10multipliesIS3_EEEvPT_PKS6_jjjS6_T1_,comdat
.Lfunc_end88:
	.size	_ZN2at6native28tensor_kernel_scan_outer_dimIN3c104HalfEjSt10multipliesIS3_EEEvPT_PKS6_jjjS6_T1_, .Lfunc_end88-_ZN2at6native28tensor_kernel_scan_outer_dimIN3c104HalfEjSt10multipliesIS3_EEEvPT_PKS6_jjjS6_T1_
                                        ; -- End function
	.section	.AMDGPU.csdata,"",@progbits
; Kernel info:
; codeLenInByte = 368
; NumSgprs: 28
; NumVgprs: 9
; ScratchSize: 0
; MemoryBound: 0
; FloatMode: 240
; IeeeMode: 1
; LDSByteSize: 0 bytes/workgroup (compile time only)
; SGPRBlocks: 3
; VGPRBlocks: 1
; NumSGPRsForWavesPerEU: 28
; NumVGPRsForWavesPerEU: 9
; Occupancy: 16
; WaveLimiterHint : 0
; COMPUTE_PGM_RSRC2:SCRATCH_EN: 0
; COMPUTE_PGM_RSRC2:USER_SGPR: 14
; COMPUTE_PGM_RSRC2:TRAP_HANDLER: 0
; COMPUTE_PGM_RSRC2:TGID_X_EN: 1
; COMPUTE_PGM_RSRC2:TGID_Y_EN: 1
; COMPUTE_PGM_RSRC2:TGID_Z_EN: 0
; COMPUTE_PGM_RSRC2:TIDIG_COMP_CNT: 0
	.section	.text._ZN2at6native28tensor_kernel_scan_outer_dimIN3c104HalfEmSt10multipliesIS3_EEEvPT_PKS6_jjjS6_T1_,"axG",@progbits,_ZN2at6native28tensor_kernel_scan_outer_dimIN3c104HalfEmSt10multipliesIS3_EEEvPT_PKS6_jjjS6_T1_,comdat
	.protected	_ZN2at6native28tensor_kernel_scan_outer_dimIN3c104HalfEmSt10multipliesIS3_EEEvPT_PKS6_jjjS6_T1_ ; -- Begin function _ZN2at6native28tensor_kernel_scan_outer_dimIN3c104HalfEmSt10multipliesIS3_EEEvPT_PKS6_jjjS6_T1_
	.globl	_ZN2at6native28tensor_kernel_scan_outer_dimIN3c104HalfEmSt10multipliesIS3_EEEvPT_PKS6_jjjS6_T1_
	.p2align	8
	.type	_ZN2at6native28tensor_kernel_scan_outer_dimIN3c104HalfEmSt10multipliesIS3_EEEvPT_PKS6_jjjS6_T1_,@function
_ZN2at6native28tensor_kernel_scan_outer_dimIN3c104HalfEmSt10multipliesIS3_EEEvPT_PKS6_jjjS6_T1_: ; @_ZN2at6native28tensor_kernel_scan_outer_dimIN3c104HalfEmSt10multipliesIS3_EEEvPT_PKS6_jjjS6_T1_
; %bb.0:
	s_load_b128 s[4:7], s[0:1], 0x10
	s_waitcnt lgkmcnt(0)
	s_cmp_ge_u32 s14, s4
	s_cbranch_scc1 .LBB89_9
; %bb.1:
	s_clause 0x2
	s_load_b32 s12, s[0:1], 0x2c
	s_load_b128 s[8:11], s[0:1], 0x0
	s_load_b32 s18, s[0:1], 0x20
	s_add_u32 s2, s0, 32
	s_addc_u32 s3, s1, 0
	v_mov_b32_e32 v3, 0
	s_mov_b32 s17, 0
	s_mul_hi_u32 s13, s6, s5
	s_mov_b32 s16, s5
	s_waitcnt lgkmcnt(0)
	s_and_b32 s1, s12, 0xffff
	s_cmp_lg_u32 s6, 0
	v_mad_u64_u32 v[1:2], null, s15, s1, v[0:1]
	s_mul_i32 s12, s6, s5
	s_cselect_b32 s15, -1, 0
	s_lshl_b64 s[12:13], s[12:13], 1
	s_lshl_b64 s[16:17], s[16:17], 1
	s_delay_alu instid0(VALU_DEP_1)
	v_cmp_gt_u32_e64 s0, s5, v1
	s_set_inst_prefetch_distance 0x1
	s_branch .LBB89_3
	.p2align	6
.LBB89_2:                               ;   in Loop: Header=BB89_3 Depth=1
	s_or_b32 exec_lo, exec_lo, s19
	s_add_i32 s14, s14, s18
	s_delay_alu instid0(SALU_CYCLE_1)
	s_cmp_ge_u32 s14, s4
	s_cbranch_scc1 .LBB89_9
.LBB89_3:                               ; =>This Loop Header: Depth=1
                                        ;     Child Loop BB89_6 Depth 2
                                        ;       Child Loop BB89_8 Depth 3
	s_delay_alu instid0(VALU_DEP_1)
	s_and_saveexec_b32 s19, s0
	s_cbranch_execz .LBB89_2
; %bb.4:                                ;   in Loop: Header=BB89_3 Depth=1
	s_load_b32 s22, s[2:3], 0x4
	v_mov_b32_e32 v2, v1
	s_mul_i32 s21, s13, s14
	s_mul_hi_u32 s23, s12, s14
	s_mul_i32 s20, s12, s14
	s_add_i32 s21, s23, s21
	s_mov_b32 s23, 0
	s_waitcnt lgkmcnt(0)
	s_mul_i32 s22, s22, s1
	s_branch .LBB89_6
	.p2align	6
.LBB89_5:                               ;   in Loop: Header=BB89_6 Depth=2
	v_add_nc_u32_e32 v2, s22, v2
	s_delay_alu instid0(VALU_DEP_1) | instskip(SKIP_1) | instid1(SALU_CYCLE_1)
	v_cmp_le_u32_e32 vcc_lo, s5, v2
	s_or_b32 s23, vcc_lo, s23
	s_and_not1_b32 exec_lo, exec_lo, s23
	s_cbranch_execz .LBB89_2
.LBB89_6:                               ;   Parent Loop BB89_3 Depth=1
                                        ; =>  This Loop Header: Depth=2
                                        ;       Child Loop BB89_8 Depth 3
	s_and_not1_b32 vcc_lo, exec_lo, s15
	s_cbranch_vccnz .LBB89_5
; %bb.7:                                ;   in Loop: Header=BB89_6 Depth=2
	v_lshlrev_b64 v[4:5], 1, v[2:3]
	s_mov_b32 s24, s6
	s_delay_alu instid0(VALU_DEP_1) | instskip(NEXT) | instid1(VALU_DEP_2)
	v_add_co_u32 v0, vcc_lo, s20, v4
	v_add_co_ci_u32_e32 v4, vcc_lo, s21, v5, vcc_lo
	v_mov_b32_e32 v5, s7
	.p2align	6
.LBB89_8:                               ;   Parent Loop BB89_3 Depth=1
                                        ;     Parent Loop BB89_6 Depth=2
                                        ; =>    This Inner Loop Header: Depth=3
	s_delay_alu instid0(VALU_DEP_3) | instskip(NEXT) | instid1(VALU_DEP_3)
	v_add_co_u32 v6, vcc_lo, s10, v0
	v_add_co_ci_u32_e32 v7, vcc_lo, s11, v4, vcc_lo
	s_add_i32 s24, s24, -1
	s_delay_alu instid0(SALU_CYCLE_1)
	s_cmp_eq_u32 s24, 0
	global_load_u16 v8, v[6:7], off
	v_add_co_u32 v6, vcc_lo, s8, v0
	v_add_co_ci_u32_e32 v7, vcc_lo, s9, v4, vcc_lo
	v_add_co_u32 v0, vcc_lo, v0, s16
	v_add_co_ci_u32_e32 v4, vcc_lo, s17, v4, vcc_lo
	s_waitcnt vmcnt(0)
	v_mul_f16_e32 v5, v8, v5
	global_store_b16 v[6:7], v5, off
	s_cbranch_scc0 .LBB89_8
	s_branch .LBB89_5
.LBB89_9:
	s_set_inst_prefetch_distance 0x2
	s_nop 0
	s_sendmsg sendmsg(MSG_DEALLOC_VGPRS)
	s_endpgm
	.section	.rodata,"a",@progbits
	.p2align	6, 0x0
	.amdhsa_kernel _ZN2at6native28tensor_kernel_scan_outer_dimIN3c104HalfEmSt10multipliesIS3_EEEvPT_PKS6_jjjS6_T1_
		.amdhsa_group_segment_fixed_size 0
		.amdhsa_private_segment_fixed_size 0
		.amdhsa_kernarg_size 288
		.amdhsa_user_sgpr_count 14
		.amdhsa_user_sgpr_dispatch_ptr 0
		.amdhsa_user_sgpr_queue_ptr 0
		.amdhsa_user_sgpr_kernarg_segment_ptr 1
		.amdhsa_user_sgpr_dispatch_id 0
		.amdhsa_user_sgpr_private_segment_size 0
		.amdhsa_wavefront_size32 1
		.amdhsa_uses_dynamic_stack 0
		.amdhsa_enable_private_segment 0
		.amdhsa_system_sgpr_workgroup_id_x 1
		.amdhsa_system_sgpr_workgroup_id_y 1
		.amdhsa_system_sgpr_workgroup_id_z 0
		.amdhsa_system_sgpr_workgroup_info 0
		.amdhsa_system_vgpr_workitem_id 0
		.amdhsa_next_free_vgpr 9
		.amdhsa_next_free_sgpr 25
		.amdhsa_reserve_vcc 1
		.amdhsa_float_round_mode_32 0
		.amdhsa_float_round_mode_16_64 0
		.amdhsa_float_denorm_mode_32 3
		.amdhsa_float_denorm_mode_16_64 3
		.amdhsa_dx10_clamp 1
		.amdhsa_ieee_mode 1
		.amdhsa_fp16_overflow 0
		.amdhsa_workgroup_processor_mode 1
		.amdhsa_memory_ordered 1
		.amdhsa_forward_progress 0
		.amdhsa_shared_vgpr_count 0
		.amdhsa_exception_fp_ieee_invalid_op 0
		.amdhsa_exception_fp_denorm_src 0
		.amdhsa_exception_fp_ieee_div_zero 0
		.amdhsa_exception_fp_ieee_overflow 0
		.amdhsa_exception_fp_ieee_underflow 0
		.amdhsa_exception_fp_ieee_inexact 0
		.amdhsa_exception_int_div_zero 0
	.end_amdhsa_kernel
	.section	.text._ZN2at6native28tensor_kernel_scan_outer_dimIN3c104HalfEmSt10multipliesIS3_EEEvPT_PKS6_jjjS6_T1_,"axG",@progbits,_ZN2at6native28tensor_kernel_scan_outer_dimIN3c104HalfEmSt10multipliesIS3_EEEvPT_PKS6_jjjS6_T1_,comdat
.Lfunc_end89:
	.size	_ZN2at6native28tensor_kernel_scan_outer_dimIN3c104HalfEmSt10multipliesIS3_EEEvPT_PKS6_jjjS6_T1_, .Lfunc_end89-_ZN2at6native28tensor_kernel_scan_outer_dimIN3c104HalfEmSt10multipliesIS3_EEEvPT_PKS6_jjjS6_T1_
                                        ; -- End function
	.section	.AMDGPU.csdata,"",@progbits
; Kernel info:
; codeLenInByte = 372
; NumSgprs: 27
; NumVgprs: 9
; ScratchSize: 0
; MemoryBound: 0
; FloatMode: 240
; IeeeMode: 1
; LDSByteSize: 0 bytes/workgroup (compile time only)
; SGPRBlocks: 3
; VGPRBlocks: 1
; NumSGPRsForWavesPerEU: 27
; NumVGPRsForWavesPerEU: 9
; Occupancy: 16
; WaveLimiterHint : 0
; COMPUTE_PGM_RSRC2:SCRATCH_EN: 0
; COMPUTE_PGM_RSRC2:USER_SGPR: 14
; COMPUTE_PGM_RSRC2:TRAP_HANDLER: 0
; COMPUTE_PGM_RSRC2:TGID_X_EN: 1
; COMPUTE_PGM_RSRC2:TGID_Y_EN: 1
; COMPUTE_PGM_RSRC2:TGID_Z_EN: 0
; COMPUTE_PGM_RSRC2:TIDIG_COMP_CNT: 0
	.section	.text._ZN7rocprim17ROCPRIM_304000_NS6detail31init_lookback_scan_state_kernelINS1_19lookback_scan_stateIN3c108BFloat16ELb1ELb1EEEEEvT_jjPNS7_10value_typeE,"axG",@progbits,_ZN7rocprim17ROCPRIM_304000_NS6detail31init_lookback_scan_state_kernelINS1_19lookback_scan_stateIN3c108BFloat16ELb1ELb1EEEEEvT_jjPNS7_10value_typeE,comdat
	.protected	_ZN7rocprim17ROCPRIM_304000_NS6detail31init_lookback_scan_state_kernelINS1_19lookback_scan_stateIN3c108BFloat16ELb1ELb1EEEEEvT_jjPNS7_10value_typeE ; -- Begin function _ZN7rocprim17ROCPRIM_304000_NS6detail31init_lookback_scan_state_kernelINS1_19lookback_scan_stateIN3c108BFloat16ELb1ELb1EEEEEvT_jjPNS7_10value_typeE
	.globl	_ZN7rocprim17ROCPRIM_304000_NS6detail31init_lookback_scan_state_kernelINS1_19lookback_scan_stateIN3c108BFloat16ELb1ELb1EEEEEvT_jjPNS7_10value_typeE
	.p2align	8
	.type	_ZN7rocprim17ROCPRIM_304000_NS6detail31init_lookback_scan_state_kernelINS1_19lookback_scan_stateIN3c108BFloat16ELb1ELb1EEEEEvT_jjPNS7_10value_typeE,@function
_ZN7rocprim17ROCPRIM_304000_NS6detail31init_lookback_scan_state_kernelINS1_19lookback_scan_stateIN3c108BFloat16ELb1ELb1EEEEEvT_jjPNS7_10value_typeE: ; @_ZN7rocprim17ROCPRIM_304000_NS6detail31init_lookback_scan_state_kernelINS1_19lookback_scan_stateIN3c108BFloat16ELb1ELb1EEEEEvT_jjPNS7_10value_typeE
; %bb.0:
	s_clause 0x2
	s_load_b32 s6, s[0:1], 0x24
	s_load_b64 s[4:5], s[0:1], 0x10
	s_load_b128 s[0:3], s[0:1], 0x0
	s_waitcnt lgkmcnt(0)
	s_and_b32 s6, s6, 0xffff
	s_cmp_eq_u64 s[4:5], 0
	v_mad_u64_u32 v[1:2], null, s15, s6, v[0:1]
	s_cbranch_scc1 .LBB90_9
; %bb.1:
	s_cmp_lt_u32 s3, s2
	s_mov_b32 s7, 0
	s_cselect_b32 s6, s3, 0
	s_mov_b32 s8, exec_lo
	s_delay_alu instid0(VALU_DEP_1)
	v_cmpx_eq_u32_e64 s6, v1
	s_cbranch_execz .LBB90_8
; %bb.2:
	s_add_i32 s6, s3, 32
	v_mov_b32_e32 v0, 0
	s_lshl_b64 s[6:7], s[6:7], 2
	s_delay_alu instid0(SALU_CYCLE_1) | instskip(SKIP_4) | instid1(VALU_DEP_1)
	s_add_u32 s6, s0, s6
	s_addc_u32 s7, s1, s7
	global_load_b32 v2, v0, s[6:7] glc
	s_waitcnt vmcnt(0)
	v_and_b32_e32 v3, 0xff0000, v2
	v_cmp_ne_u32_e32 vcc_lo, 0, v3
	s_cbranch_vccnz .LBB90_7
; %bb.3:
	s_mov_b32 s3, 1
.LBB90_4:                               ; =>This Loop Header: Depth=1
                                        ;     Child Loop BB90_5 Depth 2
	s_delay_alu instid0(SALU_CYCLE_1)
	s_max_u32 s9, s3, 1
.LBB90_5:                               ;   Parent Loop BB90_4 Depth=1
                                        ; =>  This Inner Loop Header: Depth=2
	s_delay_alu instid0(SALU_CYCLE_1)
	s_add_i32 s9, s9, -1
	s_sleep 1
	s_cmp_eq_u32 s9, 0
	s_cbranch_scc0 .LBB90_5
; %bb.6:                                ;   in Loop: Header=BB90_4 Depth=1
	global_load_b32 v2, v0, s[6:7] glc
	s_cmp_lt_u32 s3, 32
	s_cselect_b32 s9, -1, 0
	s_delay_alu instid0(SALU_CYCLE_1) | instskip(SKIP_3) | instid1(VALU_DEP_1)
	s_cmp_lg_u32 s9, 0
	s_addc_u32 s3, s3, 0
	s_waitcnt vmcnt(0)
	v_and_b32_e32 v3, 0xff0000, v2
	v_cmp_ne_u32_e32 vcc_lo, 0, v3
	s_cbranch_vccz .LBB90_4
.LBB90_7:
	v_mov_b32_e32 v0, 0
	global_store_b16 v0, v2, s[4:5]
.LBB90_8:
	s_or_b32 exec_lo, exec_lo, s8
.LBB90_9:
	s_delay_alu instid0(VALU_DEP_1)
	v_cmp_gt_u32_e32 vcc_lo, s2, v1
	s_and_saveexec_b32 s2, vcc_lo
	s_cbranch_execz .LBB90_11
; %bb.10:
	v_dual_mov_b32 v3, 0 :: v_dual_add_nc_u32 v2, 32, v1
	s_delay_alu instid0(VALU_DEP_1) | instskip(NEXT) | instid1(VALU_DEP_1)
	v_lshlrev_b64 v[4:5], 2, v[2:3]
	v_add_co_u32 v4, vcc_lo, s0, v4
	s_delay_alu instid0(VALU_DEP_2)
	v_add_co_ci_u32_e32 v5, vcc_lo, s1, v5, vcc_lo
	global_store_b32 v[4:5], v3, off
.LBB90_11:
	s_or_b32 exec_lo, exec_lo, s2
	s_delay_alu instid0(SALU_CYCLE_1)
	s_mov_b32 s2, exec_lo
	v_cmpx_gt_u32_e32 32, v1
	s_cbranch_execz .LBB90_13
; %bb.12:
	v_mov_b32_e32 v2, 0
	s_delay_alu instid0(VALU_DEP_1) | instskip(SKIP_1) | instid1(VALU_DEP_2)
	v_lshlrev_b64 v[0:1], 2, v[1:2]
	v_mov_b32_e32 v2, 0xff0000
	v_add_co_u32 v0, vcc_lo, s0, v0
	s_delay_alu instid0(VALU_DEP_3)
	v_add_co_ci_u32_e32 v1, vcc_lo, s1, v1, vcc_lo
	global_store_b32 v[0:1], v2, off
.LBB90_13:
	s_nop 0
	s_sendmsg sendmsg(MSG_DEALLOC_VGPRS)
	s_endpgm
	.section	.rodata,"a",@progbits
	.p2align	6, 0x0
	.amdhsa_kernel _ZN7rocprim17ROCPRIM_304000_NS6detail31init_lookback_scan_state_kernelINS1_19lookback_scan_stateIN3c108BFloat16ELb1ELb1EEEEEvT_jjPNS7_10value_typeE
		.amdhsa_group_segment_fixed_size 0
		.amdhsa_private_segment_fixed_size 0
		.amdhsa_kernarg_size 280
		.amdhsa_user_sgpr_count 15
		.amdhsa_user_sgpr_dispatch_ptr 0
		.amdhsa_user_sgpr_queue_ptr 0
		.amdhsa_user_sgpr_kernarg_segment_ptr 1
		.amdhsa_user_sgpr_dispatch_id 0
		.amdhsa_user_sgpr_private_segment_size 0
		.amdhsa_wavefront_size32 1
		.amdhsa_uses_dynamic_stack 0
		.amdhsa_enable_private_segment 0
		.amdhsa_system_sgpr_workgroup_id_x 1
		.amdhsa_system_sgpr_workgroup_id_y 0
		.amdhsa_system_sgpr_workgroup_id_z 0
		.amdhsa_system_sgpr_workgroup_info 0
		.amdhsa_system_vgpr_workitem_id 0
		.amdhsa_next_free_vgpr 6
		.amdhsa_next_free_sgpr 16
		.amdhsa_reserve_vcc 1
		.amdhsa_float_round_mode_32 0
		.amdhsa_float_round_mode_16_64 0
		.amdhsa_float_denorm_mode_32 3
		.amdhsa_float_denorm_mode_16_64 3
		.amdhsa_dx10_clamp 1
		.amdhsa_ieee_mode 1
		.amdhsa_fp16_overflow 0
		.amdhsa_workgroup_processor_mode 1
		.amdhsa_memory_ordered 1
		.amdhsa_forward_progress 0
		.amdhsa_shared_vgpr_count 0
		.amdhsa_exception_fp_ieee_invalid_op 0
		.amdhsa_exception_fp_denorm_src 0
		.amdhsa_exception_fp_ieee_div_zero 0
		.amdhsa_exception_fp_ieee_overflow 0
		.amdhsa_exception_fp_ieee_underflow 0
		.amdhsa_exception_fp_ieee_inexact 0
		.amdhsa_exception_int_div_zero 0
	.end_amdhsa_kernel
	.section	.text._ZN7rocprim17ROCPRIM_304000_NS6detail31init_lookback_scan_state_kernelINS1_19lookback_scan_stateIN3c108BFloat16ELb1ELb1EEEEEvT_jjPNS7_10value_typeE,"axG",@progbits,_ZN7rocprim17ROCPRIM_304000_NS6detail31init_lookback_scan_state_kernelINS1_19lookback_scan_stateIN3c108BFloat16ELb1ELb1EEEEEvT_jjPNS7_10value_typeE,comdat
.Lfunc_end90:
	.size	_ZN7rocprim17ROCPRIM_304000_NS6detail31init_lookback_scan_state_kernelINS1_19lookback_scan_stateIN3c108BFloat16ELb1ELb1EEEEEvT_jjPNS7_10value_typeE, .Lfunc_end90-_ZN7rocprim17ROCPRIM_304000_NS6detail31init_lookback_scan_state_kernelINS1_19lookback_scan_stateIN3c108BFloat16ELb1ELb1EEEEEvT_jjPNS7_10value_typeE
                                        ; -- End function
	.section	.AMDGPU.csdata,"",@progbits
; Kernel info:
; codeLenInByte = 376
; NumSgprs: 18
; NumVgprs: 6
; ScratchSize: 0
; MemoryBound: 0
; FloatMode: 240
; IeeeMode: 1
; LDSByteSize: 0 bytes/workgroup (compile time only)
; SGPRBlocks: 2
; VGPRBlocks: 0
; NumSGPRsForWavesPerEU: 18
; NumVGPRsForWavesPerEU: 6
; Occupancy: 16
; WaveLimiterHint : 0
; COMPUTE_PGM_RSRC2:SCRATCH_EN: 0
; COMPUTE_PGM_RSRC2:USER_SGPR: 15
; COMPUTE_PGM_RSRC2:TRAP_HANDLER: 0
; COMPUTE_PGM_RSRC2:TGID_X_EN: 1
; COMPUTE_PGM_RSRC2:TGID_Y_EN: 0
; COMPUTE_PGM_RSRC2:TGID_Z_EN: 0
; COMPUTE_PGM_RSRC2:TIDIG_COMP_CNT: 0
	.section	.text._ZN7rocprim17ROCPRIM_304000_NS6detail31init_lookback_scan_state_kernelINS1_19lookback_scan_stateIN3c108BFloat16ELb0ELb1EEEEEvT_jjPNS7_10value_typeE,"axG",@progbits,_ZN7rocprim17ROCPRIM_304000_NS6detail31init_lookback_scan_state_kernelINS1_19lookback_scan_stateIN3c108BFloat16ELb0ELb1EEEEEvT_jjPNS7_10value_typeE,comdat
	.protected	_ZN7rocprim17ROCPRIM_304000_NS6detail31init_lookback_scan_state_kernelINS1_19lookback_scan_stateIN3c108BFloat16ELb0ELb1EEEEEvT_jjPNS7_10value_typeE ; -- Begin function _ZN7rocprim17ROCPRIM_304000_NS6detail31init_lookback_scan_state_kernelINS1_19lookback_scan_stateIN3c108BFloat16ELb0ELb1EEEEEvT_jjPNS7_10value_typeE
	.globl	_ZN7rocprim17ROCPRIM_304000_NS6detail31init_lookback_scan_state_kernelINS1_19lookback_scan_stateIN3c108BFloat16ELb0ELb1EEEEEvT_jjPNS7_10value_typeE
	.p2align	8
	.type	_ZN7rocprim17ROCPRIM_304000_NS6detail31init_lookback_scan_state_kernelINS1_19lookback_scan_stateIN3c108BFloat16ELb0ELb1EEEEEvT_jjPNS7_10value_typeE,@function
_ZN7rocprim17ROCPRIM_304000_NS6detail31init_lookback_scan_state_kernelINS1_19lookback_scan_stateIN3c108BFloat16ELb0ELb1EEEEEvT_jjPNS7_10value_typeE: ; @_ZN7rocprim17ROCPRIM_304000_NS6detail31init_lookback_scan_state_kernelINS1_19lookback_scan_stateIN3c108BFloat16ELb0ELb1EEEEEvT_jjPNS7_10value_typeE
; %bb.0:
	s_clause 0x2
	s_load_b32 s6, s[0:1], 0x24
	s_load_b64 s[4:5], s[0:1], 0x10
	s_load_b128 s[0:3], s[0:1], 0x0
	s_waitcnt lgkmcnt(0)
	s_and_b32 s6, s6, 0xffff
	s_cmp_eq_u64 s[4:5], 0
	v_mad_u64_u32 v[1:2], null, s15, s6, v[0:1]
	s_cbranch_scc1 .LBB91_6
; %bb.1:
	s_cmp_lt_u32 s3, s2
	s_mov_b32 s7, 0
	s_cselect_b32 s6, s3, 0
	s_mov_b32 s8, exec_lo
	s_delay_alu instid0(VALU_DEP_1)
	v_cmpx_eq_u32_e64 s6, v1
	s_cbranch_execz .LBB91_5
; %bb.2:
	s_add_i32 s6, s3, 32
	v_mov_b32_e32 v2, 0
	s_lshl_b64 s[6:7], s[6:7], 2
	s_delay_alu instid0(SALU_CYCLE_1) | instskip(SKIP_4) | instid1(VALU_DEP_1)
	s_add_u32 s6, s0, s6
	s_addc_u32 s7, s1, s7
	global_load_b32 v0, v2, s[6:7] glc
	s_waitcnt vmcnt(0)
	v_and_b32_e32 v3, 0xff0000, v0
	v_cmp_ne_u32_e32 vcc_lo, 0, v3
	s_cbranch_vccnz .LBB91_4
.LBB91_3:                               ; =>This Inner Loop Header: Depth=1
	global_load_b32 v0, v2, s[6:7] glc
	s_waitcnt vmcnt(0)
	v_and_b32_e32 v3, 0xff0000, v0
	s_delay_alu instid0(VALU_DEP_1)
	v_cmp_eq_u32_e32 vcc_lo, 0, v3
	s_cbranch_vccnz .LBB91_3
.LBB91_4:
	v_mov_b32_e32 v2, 0
	global_store_b16 v2, v0, s[4:5]
.LBB91_5:
	s_or_b32 exec_lo, exec_lo, s8
.LBB91_6:
	s_delay_alu instid0(VALU_DEP_1)
	v_cmp_gt_u32_e32 vcc_lo, s2, v1
	s_and_saveexec_b32 s2, vcc_lo
	s_cbranch_execz .LBB91_8
; %bb.7:
	v_dual_mov_b32 v3, 0 :: v_dual_add_nc_u32 v2, 32, v1
	s_delay_alu instid0(VALU_DEP_1) | instskip(NEXT) | instid1(VALU_DEP_1)
	v_lshlrev_b64 v[4:5], 2, v[2:3]
	v_add_co_u32 v4, vcc_lo, s0, v4
	s_delay_alu instid0(VALU_DEP_2)
	v_add_co_ci_u32_e32 v5, vcc_lo, s1, v5, vcc_lo
	global_store_b32 v[4:5], v3, off
.LBB91_8:
	s_or_b32 exec_lo, exec_lo, s2
	s_delay_alu instid0(SALU_CYCLE_1)
	s_mov_b32 s2, exec_lo
	v_cmpx_gt_u32_e32 32, v1
	s_cbranch_execz .LBB91_10
; %bb.9:
	v_mov_b32_e32 v2, 0
	s_delay_alu instid0(VALU_DEP_1) | instskip(SKIP_1) | instid1(VALU_DEP_2)
	v_lshlrev_b64 v[0:1], 2, v[1:2]
	v_mov_b32_e32 v2, 0xff0000
	v_add_co_u32 v0, vcc_lo, s0, v0
	s_delay_alu instid0(VALU_DEP_3)
	v_add_co_ci_u32_e32 v1, vcc_lo, s1, v1, vcc_lo
	global_store_b32 v[0:1], v2, off
.LBB91_10:
	s_nop 0
	s_sendmsg sendmsg(MSG_DEALLOC_VGPRS)
	s_endpgm
	.section	.rodata,"a",@progbits
	.p2align	6, 0x0
	.amdhsa_kernel _ZN7rocprim17ROCPRIM_304000_NS6detail31init_lookback_scan_state_kernelINS1_19lookback_scan_stateIN3c108BFloat16ELb0ELb1EEEEEvT_jjPNS7_10value_typeE
		.amdhsa_group_segment_fixed_size 0
		.amdhsa_private_segment_fixed_size 0
		.amdhsa_kernarg_size 280
		.amdhsa_user_sgpr_count 15
		.amdhsa_user_sgpr_dispatch_ptr 0
		.amdhsa_user_sgpr_queue_ptr 0
		.amdhsa_user_sgpr_kernarg_segment_ptr 1
		.amdhsa_user_sgpr_dispatch_id 0
		.amdhsa_user_sgpr_private_segment_size 0
		.amdhsa_wavefront_size32 1
		.amdhsa_uses_dynamic_stack 0
		.amdhsa_enable_private_segment 0
		.amdhsa_system_sgpr_workgroup_id_x 1
		.amdhsa_system_sgpr_workgroup_id_y 0
		.amdhsa_system_sgpr_workgroup_id_z 0
		.amdhsa_system_sgpr_workgroup_info 0
		.amdhsa_system_vgpr_workitem_id 0
		.amdhsa_next_free_vgpr 6
		.amdhsa_next_free_sgpr 16
		.amdhsa_reserve_vcc 1
		.amdhsa_float_round_mode_32 0
		.amdhsa_float_round_mode_16_64 0
		.amdhsa_float_denorm_mode_32 3
		.amdhsa_float_denorm_mode_16_64 3
		.amdhsa_dx10_clamp 1
		.amdhsa_ieee_mode 1
		.amdhsa_fp16_overflow 0
		.amdhsa_workgroup_processor_mode 1
		.amdhsa_memory_ordered 1
		.amdhsa_forward_progress 0
		.amdhsa_shared_vgpr_count 0
		.amdhsa_exception_fp_ieee_invalid_op 0
		.amdhsa_exception_fp_denorm_src 0
		.amdhsa_exception_fp_ieee_div_zero 0
		.amdhsa_exception_fp_ieee_overflow 0
		.amdhsa_exception_fp_ieee_underflow 0
		.amdhsa_exception_fp_ieee_inexact 0
		.amdhsa_exception_int_div_zero 0
	.end_amdhsa_kernel
	.section	.text._ZN7rocprim17ROCPRIM_304000_NS6detail31init_lookback_scan_state_kernelINS1_19lookback_scan_stateIN3c108BFloat16ELb0ELb1EEEEEvT_jjPNS7_10value_typeE,"axG",@progbits,_ZN7rocprim17ROCPRIM_304000_NS6detail31init_lookback_scan_state_kernelINS1_19lookback_scan_stateIN3c108BFloat16ELb0ELb1EEEEEvT_jjPNS7_10value_typeE,comdat
.Lfunc_end91:
	.size	_ZN7rocprim17ROCPRIM_304000_NS6detail31init_lookback_scan_state_kernelINS1_19lookback_scan_stateIN3c108BFloat16ELb0ELb1EEEEEvT_jjPNS7_10value_typeE, .Lfunc_end91-_ZN7rocprim17ROCPRIM_304000_NS6detail31init_lookback_scan_state_kernelINS1_19lookback_scan_stateIN3c108BFloat16ELb0ELb1EEEEEvT_jjPNS7_10value_typeE
                                        ; -- End function
	.section	.AMDGPU.csdata,"",@progbits
; Kernel info:
; codeLenInByte = 328
; NumSgprs: 18
; NumVgprs: 6
; ScratchSize: 0
; MemoryBound: 0
; FloatMode: 240
; IeeeMode: 1
; LDSByteSize: 0 bytes/workgroup (compile time only)
; SGPRBlocks: 2
; VGPRBlocks: 0
; NumSGPRsForWavesPerEU: 18
; NumVGPRsForWavesPerEU: 6
; Occupancy: 16
; WaveLimiterHint : 0
; COMPUTE_PGM_RSRC2:SCRATCH_EN: 0
; COMPUTE_PGM_RSRC2:USER_SGPR: 15
; COMPUTE_PGM_RSRC2:TRAP_HANDLER: 0
; COMPUTE_PGM_RSRC2:TGID_X_EN: 1
; COMPUTE_PGM_RSRC2:TGID_Y_EN: 0
; COMPUTE_PGM_RSRC2:TGID_Z_EN: 0
; COMPUTE_PGM_RSRC2:TIDIG_COMP_CNT: 0
	.section	.text._ZN7rocprim17ROCPRIM_304000_NS6detail20lookback_scan_kernelILNS1_25lookback_scan_determinismE0ELb0ENS1_19wrapped_scan_configINS0_14default_configEN3c108BFloat16EEEPKS7_PS7_St10multipliesIS7_ES7_S7_NS1_19lookback_scan_stateIS7_Lb1ELb1EEEEEvT2_T3_mT5_T4_T7_jPT6_SM_bb,"axG",@progbits,_ZN7rocprim17ROCPRIM_304000_NS6detail20lookback_scan_kernelILNS1_25lookback_scan_determinismE0ELb0ENS1_19wrapped_scan_configINS0_14default_configEN3c108BFloat16EEEPKS7_PS7_St10multipliesIS7_ES7_S7_NS1_19lookback_scan_stateIS7_Lb1ELb1EEEEEvT2_T3_mT5_T4_T7_jPT6_SM_bb,comdat
	.protected	_ZN7rocprim17ROCPRIM_304000_NS6detail20lookback_scan_kernelILNS1_25lookback_scan_determinismE0ELb0ENS1_19wrapped_scan_configINS0_14default_configEN3c108BFloat16EEEPKS7_PS7_St10multipliesIS7_ES7_S7_NS1_19lookback_scan_stateIS7_Lb1ELb1EEEEEvT2_T3_mT5_T4_T7_jPT6_SM_bb ; -- Begin function _ZN7rocprim17ROCPRIM_304000_NS6detail20lookback_scan_kernelILNS1_25lookback_scan_determinismE0ELb0ENS1_19wrapped_scan_configINS0_14default_configEN3c108BFloat16EEEPKS7_PS7_St10multipliesIS7_ES7_S7_NS1_19lookback_scan_stateIS7_Lb1ELb1EEEEEvT2_T3_mT5_T4_T7_jPT6_SM_bb
	.globl	_ZN7rocprim17ROCPRIM_304000_NS6detail20lookback_scan_kernelILNS1_25lookback_scan_determinismE0ELb0ENS1_19wrapped_scan_configINS0_14default_configEN3c108BFloat16EEEPKS7_PS7_St10multipliesIS7_ES7_S7_NS1_19lookback_scan_stateIS7_Lb1ELb1EEEEEvT2_T3_mT5_T4_T7_jPT6_SM_bb
	.p2align	8
	.type	_ZN7rocprim17ROCPRIM_304000_NS6detail20lookback_scan_kernelILNS1_25lookback_scan_determinismE0ELb0ENS1_19wrapped_scan_configINS0_14default_configEN3c108BFloat16EEEPKS7_PS7_St10multipliesIS7_ES7_S7_NS1_19lookback_scan_stateIS7_Lb1ELb1EEEEEvT2_T3_mT5_T4_T7_jPT6_SM_bb,@function
_ZN7rocprim17ROCPRIM_304000_NS6detail20lookback_scan_kernelILNS1_25lookback_scan_determinismE0ELb0ENS1_19wrapped_scan_configINS0_14default_configEN3c108BFloat16EEEPKS7_PS7_St10multipliesIS7_ES7_S7_NS1_19lookback_scan_stateIS7_Lb1ELb1EEEEEvT2_T3_mT5_T4_T7_jPT6_SM_bb: ; @_ZN7rocprim17ROCPRIM_304000_NS6detail20lookback_scan_kernelILNS1_25lookback_scan_determinismE0ELb0ENS1_19wrapped_scan_configINS0_14default_configEN3c108BFloat16EEEPKS7_PS7_St10multipliesIS7_ES7_S7_NS1_19lookback_scan_stateIS7_Lb1ELb1EEEEEvT2_T3_mT5_T4_T7_jPT6_SM_bb
; %bb.0:
	s_endpgm
	.section	.rodata,"a",@progbits
	.p2align	6, 0x0
	.amdhsa_kernel _ZN7rocprim17ROCPRIM_304000_NS6detail20lookback_scan_kernelILNS1_25lookback_scan_determinismE0ELb0ENS1_19wrapped_scan_configINS0_14default_configEN3c108BFloat16EEEPKS7_PS7_St10multipliesIS7_ES7_S7_NS1_19lookback_scan_stateIS7_Lb1ELb1EEEEEvT2_T3_mT5_T4_T7_jPT6_SM_bb
		.amdhsa_group_segment_fixed_size 0
		.amdhsa_private_segment_fixed_size 0
		.amdhsa_kernarg_size 68
		.amdhsa_user_sgpr_count 15
		.amdhsa_user_sgpr_dispatch_ptr 0
		.amdhsa_user_sgpr_queue_ptr 0
		.amdhsa_user_sgpr_kernarg_segment_ptr 1
		.amdhsa_user_sgpr_dispatch_id 0
		.amdhsa_user_sgpr_private_segment_size 0
		.amdhsa_wavefront_size32 1
		.amdhsa_uses_dynamic_stack 0
		.amdhsa_enable_private_segment 0
		.amdhsa_system_sgpr_workgroup_id_x 1
		.amdhsa_system_sgpr_workgroup_id_y 0
		.amdhsa_system_sgpr_workgroup_id_z 0
		.amdhsa_system_sgpr_workgroup_info 0
		.amdhsa_system_vgpr_workitem_id 0
		.amdhsa_next_free_vgpr 1
		.amdhsa_next_free_sgpr 1
		.amdhsa_reserve_vcc 0
		.amdhsa_float_round_mode_32 0
		.amdhsa_float_round_mode_16_64 0
		.amdhsa_float_denorm_mode_32 3
		.amdhsa_float_denorm_mode_16_64 3
		.amdhsa_dx10_clamp 1
		.amdhsa_ieee_mode 1
		.amdhsa_fp16_overflow 0
		.amdhsa_workgroup_processor_mode 1
		.amdhsa_memory_ordered 1
		.amdhsa_forward_progress 0
		.amdhsa_shared_vgpr_count 0
		.amdhsa_exception_fp_ieee_invalid_op 0
		.amdhsa_exception_fp_denorm_src 0
		.amdhsa_exception_fp_ieee_div_zero 0
		.amdhsa_exception_fp_ieee_overflow 0
		.amdhsa_exception_fp_ieee_underflow 0
		.amdhsa_exception_fp_ieee_inexact 0
		.amdhsa_exception_int_div_zero 0
	.end_amdhsa_kernel
	.section	.text._ZN7rocprim17ROCPRIM_304000_NS6detail20lookback_scan_kernelILNS1_25lookback_scan_determinismE0ELb0ENS1_19wrapped_scan_configINS0_14default_configEN3c108BFloat16EEEPKS7_PS7_St10multipliesIS7_ES7_S7_NS1_19lookback_scan_stateIS7_Lb1ELb1EEEEEvT2_T3_mT5_T4_T7_jPT6_SM_bb,"axG",@progbits,_ZN7rocprim17ROCPRIM_304000_NS6detail20lookback_scan_kernelILNS1_25lookback_scan_determinismE0ELb0ENS1_19wrapped_scan_configINS0_14default_configEN3c108BFloat16EEEPKS7_PS7_St10multipliesIS7_ES7_S7_NS1_19lookback_scan_stateIS7_Lb1ELb1EEEEEvT2_T3_mT5_T4_T7_jPT6_SM_bb,comdat
.Lfunc_end92:
	.size	_ZN7rocprim17ROCPRIM_304000_NS6detail20lookback_scan_kernelILNS1_25lookback_scan_determinismE0ELb0ENS1_19wrapped_scan_configINS0_14default_configEN3c108BFloat16EEEPKS7_PS7_St10multipliesIS7_ES7_S7_NS1_19lookback_scan_stateIS7_Lb1ELb1EEEEEvT2_T3_mT5_T4_T7_jPT6_SM_bb, .Lfunc_end92-_ZN7rocprim17ROCPRIM_304000_NS6detail20lookback_scan_kernelILNS1_25lookback_scan_determinismE0ELb0ENS1_19wrapped_scan_configINS0_14default_configEN3c108BFloat16EEEPKS7_PS7_St10multipliesIS7_ES7_S7_NS1_19lookback_scan_stateIS7_Lb1ELb1EEEEEvT2_T3_mT5_T4_T7_jPT6_SM_bb
                                        ; -- End function
	.section	.AMDGPU.csdata,"",@progbits
; Kernel info:
; codeLenInByte = 4
; NumSgprs: 0
; NumVgprs: 0
; ScratchSize: 0
; MemoryBound: 0
; FloatMode: 240
; IeeeMode: 1
; LDSByteSize: 0 bytes/workgroup (compile time only)
; SGPRBlocks: 0
; VGPRBlocks: 0
; NumSGPRsForWavesPerEU: 1
; NumVGPRsForWavesPerEU: 1
; Occupancy: 16
; WaveLimiterHint : 0
; COMPUTE_PGM_RSRC2:SCRATCH_EN: 0
; COMPUTE_PGM_RSRC2:USER_SGPR: 15
; COMPUTE_PGM_RSRC2:TRAP_HANDLER: 0
; COMPUTE_PGM_RSRC2:TGID_X_EN: 1
; COMPUTE_PGM_RSRC2:TGID_Y_EN: 0
; COMPUTE_PGM_RSRC2:TGID_Z_EN: 0
; COMPUTE_PGM_RSRC2:TIDIG_COMP_CNT: 0
	.section	.text._ZN7rocprim17ROCPRIM_304000_NS6detail20lookback_scan_kernelILNS1_25lookback_scan_determinismE0ELb0ENS1_19wrapped_scan_configINS0_14default_configEN3c108BFloat16EEEPKS7_PS7_St10multipliesIS7_ES7_S7_NS1_19lookback_scan_stateIS7_Lb0ELb1EEEEEvT2_T3_mT5_T4_T7_jPT6_SM_bb,"axG",@progbits,_ZN7rocprim17ROCPRIM_304000_NS6detail20lookback_scan_kernelILNS1_25lookback_scan_determinismE0ELb0ENS1_19wrapped_scan_configINS0_14default_configEN3c108BFloat16EEEPKS7_PS7_St10multipliesIS7_ES7_S7_NS1_19lookback_scan_stateIS7_Lb0ELb1EEEEEvT2_T3_mT5_T4_T7_jPT6_SM_bb,comdat
	.protected	_ZN7rocprim17ROCPRIM_304000_NS6detail20lookback_scan_kernelILNS1_25lookback_scan_determinismE0ELb0ENS1_19wrapped_scan_configINS0_14default_configEN3c108BFloat16EEEPKS7_PS7_St10multipliesIS7_ES7_S7_NS1_19lookback_scan_stateIS7_Lb0ELb1EEEEEvT2_T3_mT5_T4_T7_jPT6_SM_bb ; -- Begin function _ZN7rocprim17ROCPRIM_304000_NS6detail20lookback_scan_kernelILNS1_25lookback_scan_determinismE0ELb0ENS1_19wrapped_scan_configINS0_14default_configEN3c108BFloat16EEEPKS7_PS7_St10multipliesIS7_ES7_S7_NS1_19lookback_scan_stateIS7_Lb0ELb1EEEEEvT2_T3_mT5_T4_T7_jPT6_SM_bb
	.globl	_ZN7rocprim17ROCPRIM_304000_NS6detail20lookback_scan_kernelILNS1_25lookback_scan_determinismE0ELb0ENS1_19wrapped_scan_configINS0_14default_configEN3c108BFloat16EEEPKS7_PS7_St10multipliesIS7_ES7_S7_NS1_19lookback_scan_stateIS7_Lb0ELb1EEEEEvT2_T3_mT5_T4_T7_jPT6_SM_bb
	.p2align	8
	.type	_ZN7rocprim17ROCPRIM_304000_NS6detail20lookback_scan_kernelILNS1_25lookback_scan_determinismE0ELb0ENS1_19wrapped_scan_configINS0_14default_configEN3c108BFloat16EEEPKS7_PS7_St10multipliesIS7_ES7_S7_NS1_19lookback_scan_stateIS7_Lb0ELb1EEEEEvT2_T3_mT5_T4_T7_jPT6_SM_bb,@function
_ZN7rocprim17ROCPRIM_304000_NS6detail20lookback_scan_kernelILNS1_25lookback_scan_determinismE0ELb0ENS1_19wrapped_scan_configINS0_14default_configEN3c108BFloat16EEEPKS7_PS7_St10multipliesIS7_ES7_S7_NS1_19lookback_scan_stateIS7_Lb0ELb1EEEEEvT2_T3_mT5_T4_T7_jPT6_SM_bb: ; @_ZN7rocprim17ROCPRIM_304000_NS6detail20lookback_scan_kernelILNS1_25lookback_scan_determinismE0ELb0ENS1_19wrapped_scan_configINS0_14default_configEN3c108BFloat16EEEPKS7_PS7_St10multipliesIS7_ES7_S7_NS1_19lookback_scan_stateIS7_Lb0ELb1EEEEEvT2_T3_mT5_T4_T7_jPT6_SM_bb
; %bb.0:
	s_clause 0x2
	s_load_b32 s8, s[0:1], 0x28
	s_load_b64 s[2:3], s[0:1], 0x10
	s_load_b128 s[4:7], s[0:1], 0x0
	s_mov_b32 s9, 0
	v_lshlrev_b32_e32 v6, 1, v0
	s_waitcnt lgkmcnt(0)
	s_add_i32 s8, s8, -1
	s_delay_alu instid0(SALU_CYCLE_1) | instskip(NEXT) | instid1(SALU_CYCLE_1)
	s_mul_i32 s10, s8, 0x580
	s_sub_u32 s14, s2, s10
	s_subb_u32 s18, s3, 0
	s_cmp_lg_u32 s15, s8
	s_mul_i32 s8, s15, 0x580
	s_cselect_b32 s19, -1, 0
	s_lshl_b64 s[12:13], s[8:9], 1
	s_mov_b32 s3, -1
	s_add_u32 s4, s4, s12
	s_addc_u32 s5, s5, s13
	s_and_b32 vcc_lo, exec_lo, s19
	s_cbranch_vccz .LBB93_2
; %bb.1:
	s_clause 0x15
	global_load_u16 v1, v6, s[4:5]
	global_load_u16 v2, v6, s[4:5] offset:128
	global_load_u16 v3, v6, s[4:5] offset:256
	;; [unrolled: 1-line block ×21, first 2 shown]
	s_mov_b32 s3, 0
	s_waitcnt vmcnt(21)
	ds_store_b16 v6, v1
	s_waitcnt vmcnt(20)
	ds_store_b16 v6, v2 offset:128
	s_waitcnt vmcnt(19)
	ds_store_b16 v6, v3 offset:256
	;; [unrolled: 2-line block ×21, first 2 shown]
	s_waitcnt lgkmcnt(0)
	s_barrier
.LBB93_2:
	v_cmp_gt_u32_e64 s2, s14, v0
	s_and_not1_b32 vcc_lo, exec_lo, s3
	s_cbranch_vccnz .LBB93_48
; %bb.3:
	v_mov_b32_e32 v1, 0
	global_load_u16 v3, v1, s[4:5]
	v_add_co_u32 v1, s3, s4, v6
	s_delay_alu instid0(VALU_DEP_1)
	v_add_co_ci_u32_e64 v2, null, s5, 0, s3
	s_waitcnt vmcnt(0)
	v_mov_b32_e32 v4, v3
	s_and_saveexec_b32 s3, s2
	s_cbranch_execz .LBB93_5
; %bb.4:
	global_load_u16 v4, v[1:2], off
.LBB93_5:
	s_or_b32 exec_lo, exec_lo, s3
	v_or_b32_e32 v5, 64, v0
	s_delay_alu instid0(VALU_DEP_1)
	v_cmp_gt_u32_e32 vcc_lo, s14, v5
	v_mov_b32_e32 v5, v3
	s_and_saveexec_b32 s2, vcc_lo
	s_cbranch_execz .LBB93_7
; %bb.6:
	global_load_u16 v5, v[1:2], off offset:128
.LBB93_7:
	s_or_b32 exec_lo, exec_lo, s2
	v_or_b32_e32 v7, 0x80, v0
	s_delay_alu instid0(VALU_DEP_1)
	v_cmp_gt_u32_e32 vcc_lo, s14, v7
	v_mov_b32_e32 v7, v3
	s_and_saveexec_b32 s2, vcc_lo
	s_cbranch_execz .LBB93_9
; %bb.8:
	global_load_u16 v7, v[1:2], off offset:256
.LBB93_9:
	s_or_b32 exec_lo, exec_lo, s2
	v_or_b32_e32 v8, 0xc0, v0
	s_delay_alu instid0(VALU_DEP_1)
	v_cmp_gt_u32_e32 vcc_lo, s14, v8
	v_mov_b32_e32 v8, v3
	s_and_saveexec_b32 s2, vcc_lo
	s_cbranch_execz .LBB93_11
; %bb.10:
	global_load_u16 v8, v[1:2], off offset:384
.LBB93_11:
	s_or_b32 exec_lo, exec_lo, s2
	v_or_b32_e32 v9, 0x100, v0
	s_delay_alu instid0(VALU_DEP_1)
	v_cmp_gt_u32_e32 vcc_lo, s14, v9
	v_mov_b32_e32 v9, v3
	s_and_saveexec_b32 s2, vcc_lo
	s_cbranch_execz .LBB93_13
; %bb.12:
	global_load_u16 v9, v[1:2], off offset:512
.LBB93_13:
	s_or_b32 exec_lo, exec_lo, s2
	v_or_b32_e32 v10, 0x140, v0
	s_delay_alu instid0(VALU_DEP_1)
	v_cmp_gt_u32_e32 vcc_lo, s14, v10
	v_mov_b32_e32 v10, v3
	s_and_saveexec_b32 s2, vcc_lo
	s_cbranch_execz .LBB93_15
; %bb.14:
	global_load_u16 v10, v[1:2], off offset:640
.LBB93_15:
	s_or_b32 exec_lo, exec_lo, s2
	v_or_b32_e32 v11, 0x180, v0
	s_delay_alu instid0(VALU_DEP_1)
	v_cmp_gt_u32_e32 vcc_lo, s14, v11
	v_mov_b32_e32 v11, v3
	s_and_saveexec_b32 s2, vcc_lo
	s_cbranch_execz .LBB93_17
; %bb.16:
	global_load_u16 v11, v[1:2], off offset:768
.LBB93_17:
	s_or_b32 exec_lo, exec_lo, s2
	v_or_b32_e32 v12, 0x1c0, v0
	s_delay_alu instid0(VALU_DEP_1)
	v_cmp_gt_u32_e32 vcc_lo, s14, v12
	v_mov_b32_e32 v12, v3
	s_and_saveexec_b32 s2, vcc_lo
	s_cbranch_execz .LBB93_19
; %bb.18:
	global_load_u16 v12, v[1:2], off offset:896
.LBB93_19:
	s_or_b32 exec_lo, exec_lo, s2
	v_or_b32_e32 v13, 0x200, v0
	s_delay_alu instid0(VALU_DEP_1)
	v_cmp_gt_u32_e32 vcc_lo, s14, v13
	v_mov_b32_e32 v13, v3
	s_and_saveexec_b32 s2, vcc_lo
	s_cbranch_execz .LBB93_21
; %bb.20:
	global_load_u16 v13, v[1:2], off offset:1024
.LBB93_21:
	s_or_b32 exec_lo, exec_lo, s2
	v_or_b32_e32 v14, 0x240, v0
	s_delay_alu instid0(VALU_DEP_1)
	v_cmp_gt_u32_e32 vcc_lo, s14, v14
	v_mov_b32_e32 v14, v3
	s_and_saveexec_b32 s2, vcc_lo
	s_cbranch_execz .LBB93_23
; %bb.22:
	global_load_u16 v14, v[1:2], off offset:1152
.LBB93_23:
	s_or_b32 exec_lo, exec_lo, s2
	v_or_b32_e32 v15, 0x280, v0
	s_delay_alu instid0(VALU_DEP_1)
	v_cmp_gt_u32_e32 vcc_lo, s14, v15
	v_mov_b32_e32 v15, v3
	s_and_saveexec_b32 s2, vcc_lo
	s_cbranch_execz .LBB93_25
; %bb.24:
	global_load_u16 v15, v[1:2], off offset:1280
.LBB93_25:
	s_or_b32 exec_lo, exec_lo, s2
	v_or_b32_e32 v16, 0x2c0, v0
	s_delay_alu instid0(VALU_DEP_1)
	v_cmp_gt_u32_e32 vcc_lo, s14, v16
	v_mov_b32_e32 v16, v3
	s_and_saveexec_b32 s2, vcc_lo
	s_cbranch_execz .LBB93_27
; %bb.26:
	global_load_u16 v16, v[1:2], off offset:1408
.LBB93_27:
	s_or_b32 exec_lo, exec_lo, s2
	v_or_b32_e32 v17, 0x300, v0
	s_delay_alu instid0(VALU_DEP_1)
	v_cmp_gt_u32_e32 vcc_lo, s14, v17
	v_mov_b32_e32 v17, v3
	s_and_saveexec_b32 s2, vcc_lo
	s_cbranch_execz .LBB93_29
; %bb.28:
	global_load_u16 v17, v[1:2], off offset:1536
.LBB93_29:
	s_or_b32 exec_lo, exec_lo, s2
	v_or_b32_e32 v18, 0x340, v0
	s_delay_alu instid0(VALU_DEP_1)
	v_cmp_gt_u32_e32 vcc_lo, s14, v18
	v_mov_b32_e32 v18, v3
	s_and_saveexec_b32 s2, vcc_lo
	s_cbranch_execz .LBB93_31
; %bb.30:
	global_load_u16 v18, v[1:2], off offset:1664
.LBB93_31:
	s_or_b32 exec_lo, exec_lo, s2
	v_or_b32_e32 v19, 0x380, v0
	s_delay_alu instid0(VALU_DEP_1)
	v_cmp_gt_u32_e32 vcc_lo, s14, v19
	v_mov_b32_e32 v19, v3
	s_and_saveexec_b32 s2, vcc_lo
	s_cbranch_execz .LBB93_33
; %bb.32:
	global_load_u16 v19, v[1:2], off offset:1792
.LBB93_33:
	s_or_b32 exec_lo, exec_lo, s2
	v_or_b32_e32 v20, 0x3c0, v0
	s_delay_alu instid0(VALU_DEP_1)
	v_cmp_gt_u32_e32 vcc_lo, s14, v20
	v_mov_b32_e32 v20, v3
	s_and_saveexec_b32 s2, vcc_lo
	s_cbranch_execz .LBB93_35
; %bb.34:
	global_load_u16 v20, v[1:2], off offset:1920
.LBB93_35:
	s_or_b32 exec_lo, exec_lo, s2
	v_or_b32_e32 v21, 0x400, v0
	s_delay_alu instid0(VALU_DEP_1)
	v_cmp_gt_u32_e32 vcc_lo, s14, v21
	v_mov_b32_e32 v21, v3
	s_and_saveexec_b32 s2, vcc_lo
	s_cbranch_execz .LBB93_37
; %bb.36:
	global_load_u16 v21, v[1:2], off offset:2048
.LBB93_37:
	s_or_b32 exec_lo, exec_lo, s2
	v_or_b32_e32 v22, 0x440, v0
	s_delay_alu instid0(VALU_DEP_1)
	v_cmp_gt_u32_e32 vcc_lo, s14, v22
	v_mov_b32_e32 v22, v3
	s_and_saveexec_b32 s2, vcc_lo
	s_cbranch_execz .LBB93_39
; %bb.38:
	global_load_u16 v22, v[1:2], off offset:2176
.LBB93_39:
	s_or_b32 exec_lo, exec_lo, s2
	v_or_b32_e32 v23, 0x480, v0
	s_delay_alu instid0(VALU_DEP_1)
	v_cmp_gt_u32_e32 vcc_lo, s14, v23
	v_mov_b32_e32 v23, v3
	s_and_saveexec_b32 s2, vcc_lo
	s_cbranch_execz .LBB93_41
; %bb.40:
	global_load_u16 v23, v[1:2], off offset:2304
.LBB93_41:
	s_or_b32 exec_lo, exec_lo, s2
	v_or_b32_e32 v24, 0x4c0, v0
	s_delay_alu instid0(VALU_DEP_1)
	v_cmp_gt_u32_e32 vcc_lo, s14, v24
	v_mov_b32_e32 v24, v3
	s_and_saveexec_b32 s2, vcc_lo
	s_cbranch_execz .LBB93_43
; %bb.42:
	global_load_u16 v24, v[1:2], off offset:2432
.LBB93_43:
	s_or_b32 exec_lo, exec_lo, s2
	v_or_b32_e32 v25, 0x500, v0
	s_delay_alu instid0(VALU_DEP_1)
	v_cmp_gt_u32_e32 vcc_lo, s14, v25
	v_mov_b32_e32 v25, v3
	s_and_saveexec_b32 s2, vcc_lo
	s_cbranch_execz .LBB93_45
; %bb.44:
	global_load_u16 v25, v[1:2], off offset:2560
.LBB93_45:
	s_or_b32 exec_lo, exec_lo, s2
	v_or_b32_e32 v26, 0x540, v0
	s_mov_b32 s2, exec_lo
	s_delay_alu instid0(VALU_DEP_1)
	v_cmpx_gt_u32_e64 s14, v26
	s_cbranch_execz .LBB93_47
; %bb.46:
	global_load_u16 v3, v[1:2], off offset:2688
.LBB93_47:
	s_or_b32 exec_lo, exec_lo, s2
	s_waitcnt vmcnt(0)
	ds_store_b16 v6, v4
	ds_store_b16 v6, v5 offset:128
	ds_store_b16 v6, v7 offset:256
	ds_store_b16 v6, v8 offset:384
	ds_store_b16 v6, v9 offset:512
	ds_store_b16 v6, v10 offset:640
	ds_store_b16 v6, v11 offset:768
	ds_store_b16 v6, v12 offset:896
	ds_store_b16 v6, v13 offset:1024
	ds_store_b16 v6, v14 offset:1152
	ds_store_b16 v6, v15 offset:1280
	ds_store_b16 v6, v16 offset:1408
	ds_store_b16 v6, v17 offset:1536
	ds_store_b16 v6, v18 offset:1664
	ds_store_b16 v6, v19 offset:1792
	ds_store_b16 v6, v20 offset:1920
	ds_store_b16 v6, v21 offset:2048
	ds_store_b16 v6, v22 offset:2176
	ds_store_b16 v6, v23 offset:2304
	ds_store_b16 v6, v24 offset:2432
	ds_store_b16 v6, v25 offset:2560
	ds_store_b16 v6, v3 offset:2688
	s_waitcnt lgkmcnt(0)
	s_barrier
.LBB93_48:
	v_mul_u32_u24_e32 v7, 22, v0
	buffer_gl0_inv
	s_load_b64 s[16:17], s[0:1], 0x20
	v_cmp_gt_u32_e32 vcc_lo, 32, v0
	s_cmp_lg_u32 s15, 0
	v_lshlrev_b32_e32 v8, 1, v7
	ds_load_2addr_b32 v[1:2], v8 offset1:1
	ds_load_2addr_b32 v[3:4], v8 offset0:2 offset1:3
	ds_load_2addr_b32 v[9:10], v8 offset0:4 offset1:5
	ds_load_2addr_b32 v[11:12], v8 offset0:6 offset1:7
	ds_load_2addr_b32 v[13:14], v8 offset0:8 offset1:9
	ds_load_b32 v5, v8 offset:40
	s_waitcnt lgkmcnt(0)
	s_barrier
	buffer_gl0_inv
	v_lshrrev_b32_e32 v15, 16, v1
	v_lshrrev_b32_e32 v16, 16, v2
	v_and_b32_e32 v2, 0xffff, v2
	v_lshrrev_b32_e32 v17, 16, v3
	v_lshrrev_b32_e32 v18, 16, v4
	v_and_b32_e32 v3, 0xffff, v3
	v_and_b32_e32 v4, 0xffff, v4
	v_lshrrev_b32_e32 v19, 16, v9
	v_lshrrev_b32_e32 v30, 16, v10
	v_and_b32_e32 v9, 0xffff, v9
	;; [unrolled: 4-line block ×4, first 2 shown]
	v_and_b32_e32 v35, 0xffff, v14
	v_lshrrev_b32_e32 v36, 16, v5
	v_and_b32_e32 v5, 0xffff, v5
	v_lshlrev_b32_e32 v29, 16, v15
	v_lshlrev_b32_e32 v28, 16, v2
	;; [unrolled: 1-line block ×21, first 2 shown]
	v_lshrrev_b32_e32 v30, 5, v0
	s_cbranch_scc0 .LBB93_105
; %bb.49:
	v_lshlrev_b32_e32 v31, 16, v1
	s_delay_alu instid0(VALU_DEP_2) | instskip(NEXT) | instid1(VALU_DEP_2)
	v_add_lshl_u32 v4, v30, v0, 1
	v_mul_f32_e32 v2, v31, v29
	s_delay_alu instid0(VALU_DEP_1) | instskip(NEXT) | instid1(VALU_DEP_1)
	v_bfe_u32 v3, v2, 16, 1
	v_add3_u32 v3, v2, v3, 0x7fff
	s_delay_alu instid0(VALU_DEP_1) | instskip(SKIP_1) | instid1(VALU_DEP_1)
	v_and_b32_e32 v3, 0xffff0000, v3
	v_cmp_o_f32_e64 s2, v2, v2
	v_cndmask_b32_e64 v2, 0x7fc00000, v3, s2
	s_delay_alu instid0(VALU_DEP_1) | instskip(NEXT) | instid1(VALU_DEP_1)
	v_mul_f32_e32 v2, v2, v28
	v_bfe_u32 v3, v2, 16, 1
	v_cmp_o_f32_e64 s2, v2, v2
	s_delay_alu instid0(VALU_DEP_2) | instskip(NEXT) | instid1(VALU_DEP_1)
	v_add3_u32 v3, v2, v3, 0x7fff
	v_and_b32_e32 v3, 0xffff0000, v3
	s_delay_alu instid0(VALU_DEP_1) | instskip(NEXT) | instid1(VALU_DEP_1)
	v_cndmask_b32_e64 v2, 0x7fc00000, v3, s2
	v_mul_f32_e32 v2, v2, v27
	s_delay_alu instid0(VALU_DEP_1) | instskip(SKIP_1) | instid1(VALU_DEP_2)
	v_bfe_u32 v3, v2, 16, 1
	v_cmp_o_f32_e64 s2, v2, v2
	v_add3_u32 v3, v2, v3, 0x7fff
	s_delay_alu instid0(VALU_DEP_1) | instskip(NEXT) | instid1(VALU_DEP_1)
	v_and_b32_e32 v3, 0xffff0000, v3
	v_cndmask_b32_e64 v2, 0x7fc00000, v3, s2
	s_delay_alu instid0(VALU_DEP_1) | instskip(NEXT) | instid1(VALU_DEP_1)
	v_mul_f32_e32 v2, v2, v26
	v_bfe_u32 v3, v2, 16, 1
	v_cmp_o_f32_e64 s2, v2, v2
	s_delay_alu instid0(VALU_DEP_2) | instskip(NEXT) | instid1(VALU_DEP_1)
	v_add3_u32 v3, v2, v3, 0x7fff
	v_and_b32_e32 v3, 0xffff0000, v3
	s_delay_alu instid0(VALU_DEP_1) | instskip(NEXT) | instid1(VALU_DEP_1)
	v_cndmask_b32_e64 v2, 0x7fc00000, v3, s2
	v_mul_f32_e32 v2, v2, v25
	s_delay_alu instid0(VALU_DEP_1) | instskip(SKIP_1) | instid1(VALU_DEP_2)
	v_bfe_u32 v3, v2, 16, 1
	v_cmp_o_f32_e64 s2, v2, v2
	v_add3_u32 v3, v2, v3, 0x7fff
	s_delay_alu instid0(VALU_DEP_1) | instskip(NEXT) | instid1(VALU_DEP_1)
	v_and_b32_e32 v3, 0xffff0000, v3
	;; [unrolled: 17-line block ×9, first 2 shown]
	v_cndmask_b32_e64 v2, 0x7fc00000, v3, s2
	s_delay_alu instid0(VALU_DEP_1) | instskip(NEXT) | instid1(VALU_DEP_1)
	v_mul_f32_e32 v2, v2, v10
	v_bfe_u32 v3, v2, 16, 1
	v_cmp_o_f32_e64 s2, v2, v2
	s_delay_alu instid0(VALU_DEP_2) | instskip(NEXT) | instid1(VALU_DEP_1)
	v_add3_u32 v3, v2, v3, 0x7fff
	v_and_b32_e32 v3, 0xffff0000, v3
	s_delay_alu instid0(VALU_DEP_1) | instskip(NEXT) | instid1(VALU_DEP_1)
	v_cndmask_b32_e64 v2, 0x7fc00000, v3, s2
	v_mul_f32_e32 v2, v2, v9
	s_delay_alu instid0(VALU_DEP_1) | instskip(SKIP_1) | instid1(VALU_DEP_2)
	v_bfe_u32 v3, v2, 16, 1
	v_cmp_o_f32_e64 s2, v2, v2
	v_add3_u32 v3, v2, v3, 0x7fff
	s_delay_alu instid0(VALU_DEP_1) | instskip(NEXT) | instid1(VALU_DEP_1)
	v_lshrrev_b32_e32 v3, 16, v3
	v_cndmask_b32_e64 v32, 0x7fc0, v3, s2
	ds_store_b16 v4, v32
	s_waitcnt lgkmcnt(0)
	s_barrier
	buffer_gl0_inv
	s_and_saveexec_b32 s3, vcc_lo
	s_cbranch_execz .LBB93_61
; %bb.50:
	v_lshrrev_b32_e32 v2, 3, v0
	s_mov_b32 s4, exec_lo
	s_delay_alu instid0(VALU_DEP_1) | instskip(NEXT) | instid1(VALU_DEP_1)
	v_and_b32_e32 v2, 6, v2
	v_lshl_or_b32 v2, v0, 2, v2
	ds_load_b32 v4, v2
	s_waitcnt lgkmcnt(0)
	v_and_b32_e32 v3, 0xffff0000, v4
	v_lshlrev_b32_e32 v4, 16, v4
	s_delay_alu instid0(VALU_DEP_1) | instskip(NEXT) | instid1(VALU_DEP_1)
	v_mul_f32_e32 v5, v4, v3
	v_bfe_u32 v33, v5, 16, 1
	v_cmp_o_f32_e64 s2, v5, v5
	s_delay_alu instid0(VALU_DEP_2) | instskip(SKIP_1) | instid1(VALU_DEP_2)
	v_add3_u32 v33, v5, v33, 0x7fff
	v_mbcnt_lo_u32_b32 v5, -1, 0
	v_lshrrev_b32_e32 v33, 16, v33
	s_delay_alu instid0(VALU_DEP_2) | instskip(NEXT) | instid1(VALU_DEP_2)
	v_and_b32_e32 v35, 15, v5
	v_cndmask_b32_e64 v33, 0x7fc0, v33, s2
	s_delay_alu instid0(VALU_DEP_1) | instskip(NEXT) | instid1(VALU_DEP_1)
	v_and_b32_e32 v34, 0xffff, v33
	v_mov_b32_dpp v36, v34 row_shr:1 row_mask:0xf bank_mask:0xf
	s_delay_alu instid0(VALU_DEP_4)
	v_cmpx_ne_u32_e32 0, v35
; %bb.51:
	s_delay_alu instid0(VALU_DEP_2) | instskip(SKIP_1) | instid1(VALU_DEP_1)
	v_lshlrev_b32_e32 v33, 16, v36
	v_lshlrev_b32_e32 v34, 16, v34
	v_mul_f32_e32 v33, v33, v34
	s_delay_alu instid0(VALU_DEP_1) | instskip(SKIP_1) | instid1(VALU_DEP_2)
	v_bfe_u32 v34, v33, 16, 1
	v_cmp_o_f32_e64 s2, v33, v33
	v_add3_u32 v34, v33, v34, 0x7fff
	s_delay_alu instid0(VALU_DEP_1) | instskip(NEXT) | instid1(VALU_DEP_1)
	v_lshrrev_b32_e32 v34, 16, v34
	v_cndmask_b32_e64 v33, 0x7fc0, v34, s2
	s_delay_alu instid0(VALU_DEP_1)
	v_and_b32_e32 v34, 0xffff, v33
; %bb.52:
	s_or_b32 exec_lo, exec_lo, s4
	s_delay_alu instid0(VALU_DEP_1)
	v_mov_b32_dpp v36, v34 row_shr:2 row_mask:0xf bank_mask:0xf
	s_mov_b32 s4, exec_lo
	v_cmpx_lt_u32_e32 1, v35
; %bb.53:
	s_delay_alu instid0(VALU_DEP_2) | instskip(SKIP_1) | instid1(VALU_DEP_1)
	v_lshlrev_b32_e32 v33, 16, v36
	v_lshlrev_b32_e32 v34, 16, v34
	v_mul_f32_e32 v33, v34, v33
	s_delay_alu instid0(VALU_DEP_1) | instskip(SKIP_1) | instid1(VALU_DEP_2)
	v_bfe_u32 v34, v33, 16, 1
	v_cmp_o_f32_e64 s2, v33, v33
	v_add3_u32 v34, v33, v34, 0x7fff
	s_delay_alu instid0(VALU_DEP_1) | instskip(NEXT) | instid1(VALU_DEP_1)
	v_lshrrev_b32_e32 v34, 16, v34
	v_cndmask_b32_e64 v33, 0x7fc0, v34, s2
	s_delay_alu instid0(VALU_DEP_1)
	v_and_b32_e32 v34, 0xffff, v33
; %bb.54:
	s_or_b32 exec_lo, exec_lo, s4
	s_delay_alu instid0(VALU_DEP_1)
	v_mov_b32_dpp v36, v34 row_shr:4 row_mask:0xf bank_mask:0xf
	s_mov_b32 s4, exec_lo
	v_cmpx_lt_u32_e32 3, v35
	;; [unrolled: 20-line block ×3, first 2 shown]
; %bb.57:
	s_delay_alu instid0(VALU_DEP_2) | instskip(SKIP_1) | instid1(VALU_DEP_1)
	v_lshlrev_b32_e32 v33, 16, v36
	v_lshlrev_b32_e32 v34, 16, v34
	v_mul_f32_e32 v33, v34, v33
	s_delay_alu instid0(VALU_DEP_1) | instskip(SKIP_1) | instid1(VALU_DEP_2)
	v_bfe_u32 v34, v33, 16, 1
	v_cmp_o_f32_e64 s2, v33, v33
	v_add3_u32 v34, v33, v34, 0x7fff
	s_delay_alu instid0(VALU_DEP_1) | instskip(NEXT) | instid1(VALU_DEP_1)
	v_lshrrev_b32_e32 v34, 16, v34
	v_cndmask_b32_e64 v33, 0x7fc0, v34, s2
	s_delay_alu instid0(VALU_DEP_1)
	v_and_b32_e32 v34, 0xffff, v33
; %bb.58:
	s_or_b32 exec_lo, exec_lo, s4
	ds_swizzle_b32 v35, v34 offset:swizzle(BROADCAST,32,15)
	v_and_b32_e32 v36, 16, v5
	s_mov_b32 s4, exec_lo
	s_delay_alu instid0(VALU_DEP_1)
	v_cmpx_ne_u32_e32 0, v36
	s_cbranch_execz .LBB93_60
; %bb.59:
	s_waitcnt lgkmcnt(0)
	v_lshlrev_b32_e32 v33, 16, v35
	v_lshlrev_b32_e32 v34, 16, v34
	s_delay_alu instid0(VALU_DEP_1) | instskip(NEXT) | instid1(VALU_DEP_1)
	v_mul_f32_e32 v33, v34, v33
	v_bfe_u32 v34, v33, 16, 1
	v_cmp_o_f32_e64 s2, v33, v33
	s_delay_alu instid0(VALU_DEP_2) | instskip(NEXT) | instid1(VALU_DEP_1)
	v_add3_u32 v34, v33, v34, 0x7fff
	v_lshrrev_b32_e32 v34, 16, v34
	s_delay_alu instid0(VALU_DEP_1)
	v_cndmask_b32_e64 v33, 0x7fc0, v34, s2
.LBB93_60:
	s_or_b32 exec_lo, exec_lo, s4
	v_add_nc_u32_e32 v34, -1, v5
	s_delay_alu instid0(VALU_DEP_2) | instskip(NEXT) | instid1(VALU_DEP_2)
	v_and_b32_e32 v33, 0xffff, v33
	v_cmp_gt_i32_e64 s2, 0, v34
	s_delay_alu instid0(VALU_DEP_1) | instskip(NEXT) | instid1(VALU_DEP_1)
	v_cndmask_b32_e64 v5, v34, v5, s2
	v_lshlrev_b32_e32 v5, 2, v5
	ds_bpermute_b32 v5, v5, v33
	s_waitcnt lgkmcnt(0)
	v_lshlrev_b32_e32 v5, 16, v5
	s_delay_alu instid0(VALU_DEP_1) | instskip(NEXT) | instid1(VALU_DEP_1)
	v_mul_f32_e32 v4, v4, v5
	v_bfe_u32 v5, v4, 16, 1
	v_cmp_o_f32_e64 s2, v4, v4
	s_delay_alu instid0(VALU_DEP_2) | instskip(NEXT) | instid1(VALU_DEP_1)
	v_add3_u32 v5, v4, v5, 0x7fff
	v_lshrrev_b32_e32 v5, 16, v5
	s_delay_alu instid0(VALU_DEP_1) | instskip(SKIP_1) | instid1(VALU_DEP_1)
	v_cndmask_b32_e64 v4, 0x7fc0, v5, s2
	v_cmp_eq_u32_e64 s2, 0, v0
	v_cndmask_b32_e64 v4, v4, v32, s2
	s_delay_alu instid0(VALU_DEP_1) | instskip(NEXT) | instid1(VALU_DEP_1)
	v_lshlrev_b32_e32 v5, 16, v4
	v_mul_f32_e32 v3, v3, v5
	s_delay_alu instid0(VALU_DEP_1) | instskip(SKIP_1) | instid1(VALU_DEP_2)
	v_bfe_u32 v5, v3, 16, 1
	v_cmp_o_f32_e64 s2, v3, v3
	v_add3_u32 v5, v3, v5, 0x7fff
	s_delay_alu instid0(VALU_DEP_1) | instskip(NEXT) | instid1(VALU_DEP_1)
	v_lshrrev_b32_e32 v5, 16, v5
	v_cndmask_b32_e64 v3, 0x7fc0, v5, s2
	ds_store_b16 v2, v4
	ds_store_b16 v2, v3 offset:2
.LBB93_61:
	s_or_b32 exec_lo, exec_lo, s3
	v_cmp_eq_u32_e64 s3, 0, v0
	v_cmp_ne_u32_e64 s2, 0, v0
	s_waitcnt lgkmcnt(0)
	s_barrier
	buffer_gl0_inv
	s_and_saveexec_b32 s4, s2
	s_cbranch_execz .LBB93_63
; %bb.62:
	v_add_nc_u32_e32 v2, -1, v0
	s_delay_alu instid0(VALU_DEP_1) | instskip(NEXT) | instid1(VALU_DEP_1)
	v_lshrrev_b32_e32 v3, 5, v2
	v_add_lshl_u32 v2, v3, v2, 1
	ds_load_u16 v32, v2
.LBB93_63:
	s_or_b32 exec_lo, exec_lo, s4
	s_and_saveexec_b32 s5, vcc_lo
	s_cbranch_execz .LBB93_102
; %bb.64:
	v_mov_b32_e32 v4, 0
	v_mbcnt_lo_u32_b32 v5, -1, 0
	ds_load_u16 v33, v4 offset:128
	v_cmp_eq_u32_e64 s4, 0, v5
	s_delay_alu instid0(VALU_DEP_1)
	s_and_saveexec_b32 s10, s4
	s_cbranch_execz .LBB93_66
; %bb.65:
	s_add_i32 s8, s15, 32
	s_waitcnt lgkmcnt(0)
	v_or_b32_e32 v2, 0x10000, v33
	s_lshl_b64 s[8:9], s[8:9], 2
	s_delay_alu instid0(SALU_CYCLE_1)
	s_add_u32 s8, s16, s8
	s_addc_u32 s9, s17, s9
	global_store_b32 v4, v2, s[8:9]
.LBB93_66:
	s_or_b32 exec_lo, exec_lo, s10
	v_xad_u32 v2, v5, -1, s15
	s_mov_b32 s8, exec_lo
	s_delay_alu instid0(VALU_DEP_1) | instskip(NEXT) | instid1(VALU_DEP_1)
	v_add_nc_u32_e32 v3, 32, v2
	v_lshlrev_b64 v[3:4], 2, v[3:4]
	s_delay_alu instid0(VALU_DEP_1) | instskip(NEXT) | instid1(VALU_DEP_2)
	v_add_co_u32 v3, vcc_lo, s16, v3
	v_add_co_ci_u32_e32 v4, vcc_lo, s17, v4, vcc_lo
	global_load_b32 v47, v[3:4], off glc
	s_waitcnt vmcnt(0)
	v_lshrrev_b32_e32 v34, 16, v47
	s_delay_alu instid0(VALU_DEP_1) | instskip(NEXT) | instid1(VALU_DEP_1)
	v_and_b32_e32 v35, 0xff, v34
	v_cmpx_eq_u16_e32 0, v35
	s_cbranch_execz .LBB93_70
; %bb.67:
	s_mov_b32 s9, 0
.LBB93_68:                              ; =>This Inner Loop Header: Depth=1
	global_load_b32 v47, v[3:4], off glc
	s_waitcnt vmcnt(0)
	v_lshrrev_b32_e32 v34, 16, v47
	s_delay_alu instid0(VALU_DEP_1) | instskip(NEXT) | instid1(VALU_DEP_1)
	v_and_b32_e32 v35, 0xff, v34
	v_cmp_ne_u16_e32 vcc_lo, 0, v35
	s_or_b32 s9, vcc_lo, s9
	s_delay_alu instid0(SALU_CYCLE_1)
	s_and_not1_b32 exec_lo, exec_lo, s9
	s_cbranch_execnz .LBB93_68
; %bb.69:
	s_or_b32 exec_lo, exec_lo, s9
.LBB93_70:
	s_delay_alu instid0(SALU_CYCLE_1)
	s_or_b32 exec_lo, exec_lo, s8
	v_cmp_ne_u32_e32 vcc_lo, 31, v5
	v_and_b32_e32 v4, 0xffff, v47
	v_and_b32_e32 v36, 0xff, v34
	v_add_nc_u32_e32 v37, 1, v5
	s_mov_b32 s8, exec_lo
	v_add_co_ci_u32_e32 v3, vcc_lo, 0, v5, vcc_lo
	s_delay_alu instid0(VALU_DEP_3) | instskip(SKIP_1) | instid1(VALU_DEP_3)
	v_cmp_eq_u16_e32 vcc_lo, 2, v36
	v_lshlrev_b32_e64 v36, v5, -1
	v_lshlrev_b32_e32 v35, 2, v3
	s_delay_alu instid0(VALU_DEP_2) | instskip(SKIP_2) | instid1(VALU_DEP_1)
	v_and_or_b32 v3, vcc_lo, v36, 0x80000000
	ds_bpermute_b32 v38, v35, v4
	v_ctz_i32_b32_e32 v3, v3
	v_cmpx_le_u32_e64 v37, v3
	s_cbranch_execz .LBB93_72
; %bb.71:
	s_waitcnt lgkmcnt(0)
	v_lshlrev_b32_e32 v38, 16, v38
	v_lshlrev_b32_e32 v4, 16, v4
	s_delay_alu instid0(VALU_DEP_1) | instskip(NEXT) | instid1(VALU_DEP_1)
	v_mul_f32_e32 v4, v4, v38
	v_bfe_u32 v38, v4, 16, 1
	v_cmp_o_f32_e32 vcc_lo, v4, v4
	s_delay_alu instid0(VALU_DEP_2) | instskip(NEXT) | instid1(VALU_DEP_1)
	v_add3_u32 v38, v4, v38, 0x7fff
	v_lshrrev_b32_e32 v38, 16, v38
	s_delay_alu instid0(VALU_DEP_1) | instskip(NEXT) | instid1(VALU_DEP_1)
	v_cndmask_b32_e32 v47, 0x7fc0, v38, vcc_lo
	v_and_b32_e32 v4, 0xffff, v47
.LBB93_72:
	s_or_b32 exec_lo, exec_lo, s8
	v_cmp_gt_u32_e32 vcc_lo, 30, v5
	v_add_nc_u32_e32 v39, 2, v5
	s_mov_b32 s8, exec_lo
	s_waitcnt lgkmcnt(0)
	v_cndmask_b32_e64 v38, 0, 1, vcc_lo
	s_delay_alu instid0(VALU_DEP_1) | instskip(NEXT) | instid1(VALU_DEP_1)
	v_lshlrev_b32_e32 v38, 1, v38
	v_add_lshl_u32 v38, v38, v5, 2
	ds_bpermute_b32 v40, v38, v4
	v_cmpx_le_u32_e64 v39, v3
	s_cbranch_execz .LBB93_74
; %bb.73:
	s_waitcnt lgkmcnt(0)
	v_lshlrev_b32_e32 v40, 16, v40
	v_lshlrev_b32_e32 v4, 16, v4
	s_delay_alu instid0(VALU_DEP_1) | instskip(NEXT) | instid1(VALU_DEP_1)
	v_mul_f32_e32 v4, v4, v40
	v_bfe_u32 v40, v4, 16, 1
	v_cmp_o_f32_e32 vcc_lo, v4, v4
	s_delay_alu instid0(VALU_DEP_2) | instskip(NEXT) | instid1(VALU_DEP_1)
	v_add3_u32 v40, v4, v40, 0x7fff
	v_lshrrev_b32_e32 v40, 16, v40
	s_delay_alu instid0(VALU_DEP_1) | instskip(NEXT) | instid1(VALU_DEP_1)
	v_cndmask_b32_e32 v47, 0x7fc0, v40, vcc_lo
	v_and_b32_e32 v4, 0xffff, v47
.LBB93_74:
	s_or_b32 exec_lo, exec_lo, s8
	v_cmp_gt_u32_e32 vcc_lo, 28, v5
	v_add_nc_u32_e32 v41, 4, v5
	s_mov_b32 s8, exec_lo
	s_waitcnt lgkmcnt(0)
	v_cndmask_b32_e64 v40, 0, 1, vcc_lo
	s_delay_alu instid0(VALU_DEP_1) | instskip(NEXT) | instid1(VALU_DEP_1)
	v_lshlrev_b32_e32 v40, 2, v40
	v_add_lshl_u32 v40, v40, v5, 2
	ds_bpermute_b32 v42, v40, v4
	;; [unrolled: 27-line block ×4, first 2 shown]
	v_cmpx_le_u32_e64 v46, v3
	s_cbranch_execz .LBB93_80
; %bb.79:
	s_waitcnt lgkmcnt(0)
	v_lshlrev_b32_e32 v3, 16, v44
	v_lshlrev_b32_e32 v4, 16, v4
	s_delay_alu instid0(VALU_DEP_1) | instskip(NEXT) | instid1(VALU_DEP_1)
	v_mul_f32_e32 v3, v4, v3
	v_bfe_u32 v4, v3, 16, 1
	v_cmp_o_f32_e32 vcc_lo, v3, v3
	s_delay_alu instid0(VALU_DEP_2) | instskip(NEXT) | instid1(VALU_DEP_1)
	v_add3_u32 v4, v3, v4, 0x7fff
	v_lshrrev_b32_e32 v4, 16, v4
	s_delay_alu instid0(VALU_DEP_1)
	v_cndmask_b32_e32 v47, 0x7fc0, v4, vcc_lo
.LBB93_80:
	s_or_b32 exec_lo, exec_lo, s8
	v_mov_b32_e32 v3, 0
	s_branch .LBB93_82
.LBB93_81:                              ;   in Loop: Header=BB93_82 Depth=1
	s_or_b32 exec_lo, exec_lo, s8
	s_delay_alu instid0(VALU_DEP_1) | instskip(SKIP_2) | instid1(VALU_DEP_2)
	v_lshlrev_b32_e32 v4, 16, v47
	v_lshlrev_b32_e32 v5, 16, v44
	v_subrev_nc_u32_e32 v2, 32, v2
	v_mul_f32_e32 v4, v5, v4
	s_delay_alu instid0(VALU_DEP_1) | instskip(SKIP_1) | instid1(VALU_DEP_2)
	v_bfe_u32 v5, v4, 16, 1
	v_cmp_o_f32_e32 vcc_lo, v4, v4
	v_add3_u32 v5, v4, v5, 0x7fff
	s_delay_alu instid0(VALU_DEP_1) | instskip(NEXT) | instid1(VALU_DEP_1)
	v_lshrrev_b32_e32 v5, 16, v5
	v_cndmask_b32_e32 v47, 0x7fc0, v5, vcc_lo
.LBB93_82:                              ; =>This Loop Header: Depth=1
                                        ;     Child Loop BB93_85 Depth 2
	v_and_b32_e32 v4, 0xff, v34
	s_waitcnt lgkmcnt(0)
	s_delay_alu instid0(VALU_DEP_2) | instskip(NEXT) | instid1(VALU_DEP_2)
	v_mov_b32_e32 v44, v47
	v_cmp_ne_u16_e32 vcc_lo, 2, v4
	v_cndmask_b32_e64 v4, 0, 1, vcc_lo
	;;#ASMSTART
	;;#ASMEND
	s_delay_alu instid0(VALU_DEP_1)
	v_cmp_ne_u32_e32 vcc_lo, 0, v4
	s_cmp_lg_u32 vcc_lo, exec_lo
	s_cbranch_scc1 .LBB93_97
; %bb.83:                               ;   in Loop: Header=BB93_82 Depth=1
	v_lshlrev_b64 v[4:5], 2, v[2:3]
	s_mov_b32 s8, exec_lo
	s_delay_alu instid0(VALU_DEP_1) | instskip(NEXT) | instid1(VALU_DEP_2)
	v_add_co_u32 v4, vcc_lo, s16, v4
	v_add_co_ci_u32_e32 v5, vcc_lo, s17, v5, vcc_lo
	global_load_b32 v47, v[4:5], off glc
	s_waitcnt vmcnt(0)
	v_lshrrev_b32_e32 v34, 16, v47
	s_delay_alu instid0(VALU_DEP_1) | instskip(NEXT) | instid1(VALU_DEP_1)
	v_and_b32_e32 v48, 0xff, v34
	v_cmpx_eq_u16_e32 0, v48
	s_cbranch_execz .LBB93_87
; %bb.84:                               ;   in Loop: Header=BB93_82 Depth=1
	s_mov_b32 s9, 0
.LBB93_85:                              ;   Parent Loop BB93_82 Depth=1
                                        ; =>  This Inner Loop Header: Depth=2
	global_load_b32 v47, v[4:5], off glc
	s_waitcnt vmcnt(0)
	v_lshrrev_b32_e32 v34, 16, v47
	s_delay_alu instid0(VALU_DEP_1) | instskip(NEXT) | instid1(VALU_DEP_1)
	v_and_b32_e32 v48, 0xff, v34
	v_cmp_ne_u16_e32 vcc_lo, 0, v48
	s_or_b32 s9, vcc_lo, s9
	s_delay_alu instid0(SALU_CYCLE_1)
	s_and_not1_b32 exec_lo, exec_lo, s9
	s_cbranch_execnz .LBB93_85
; %bb.86:                               ;   in Loop: Header=BB93_82 Depth=1
	s_or_b32 exec_lo, exec_lo, s9
.LBB93_87:                              ;   in Loop: Header=BB93_82 Depth=1
	s_delay_alu instid0(SALU_CYCLE_1)
	s_or_b32 exec_lo, exec_lo, s8
	v_and_b32_e32 v5, 0xffff, v47
	v_and_b32_e32 v4, 0xff, v34
	s_mov_b32 s8, exec_lo
	ds_bpermute_b32 v48, v35, v5
	v_cmp_eq_u16_e32 vcc_lo, 2, v4
	v_and_or_b32 v4, vcc_lo, v36, 0x80000000
	s_delay_alu instid0(VALU_DEP_1) | instskip(NEXT) | instid1(VALU_DEP_1)
	v_ctz_i32_b32_e32 v4, v4
	v_cmpx_le_u32_e64 v37, v4
	s_cbranch_execz .LBB93_89
; %bb.88:                               ;   in Loop: Header=BB93_82 Depth=1
	s_waitcnt lgkmcnt(0)
	v_lshlrev_b32_e32 v47, 16, v48
	v_lshlrev_b32_e32 v5, 16, v5
	s_delay_alu instid0(VALU_DEP_1) | instskip(NEXT) | instid1(VALU_DEP_1)
	v_mul_f32_e32 v5, v5, v47
	v_bfe_u32 v47, v5, 16, 1
	v_cmp_o_f32_e32 vcc_lo, v5, v5
	s_delay_alu instid0(VALU_DEP_2) | instskip(NEXT) | instid1(VALU_DEP_1)
	v_add3_u32 v47, v5, v47, 0x7fff
	v_lshrrev_b32_e32 v47, 16, v47
	s_delay_alu instid0(VALU_DEP_1) | instskip(NEXT) | instid1(VALU_DEP_1)
	v_cndmask_b32_e32 v47, 0x7fc0, v47, vcc_lo
	v_and_b32_e32 v5, 0xffff, v47
.LBB93_89:                              ;   in Loop: Header=BB93_82 Depth=1
	s_or_b32 exec_lo, exec_lo, s8
	s_waitcnt lgkmcnt(0)
	ds_bpermute_b32 v48, v38, v5
	s_mov_b32 s8, exec_lo
	v_cmpx_le_u32_e64 v39, v4
	s_cbranch_execz .LBB93_91
; %bb.90:                               ;   in Loop: Header=BB93_82 Depth=1
	s_waitcnt lgkmcnt(0)
	v_lshlrev_b32_e32 v47, 16, v48
	v_lshlrev_b32_e32 v5, 16, v5
	s_delay_alu instid0(VALU_DEP_1) | instskip(NEXT) | instid1(VALU_DEP_1)
	v_mul_f32_e32 v5, v5, v47
	v_bfe_u32 v47, v5, 16, 1
	v_cmp_o_f32_e32 vcc_lo, v5, v5
	s_delay_alu instid0(VALU_DEP_2) | instskip(NEXT) | instid1(VALU_DEP_1)
	v_add3_u32 v47, v5, v47, 0x7fff
	v_lshrrev_b32_e32 v47, 16, v47
	s_delay_alu instid0(VALU_DEP_1) | instskip(NEXT) | instid1(VALU_DEP_1)
	v_cndmask_b32_e32 v47, 0x7fc0, v47, vcc_lo
	v_and_b32_e32 v5, 0xffff, v47
.LBB93_91:                              ;   in Loop: Header=BB93_82 Depth=1
	s_or_b32 exec_lo, exec_lo, s8
	s_waitcnt lgkmcnt(0)
	ds_bpermute_b32 v48, v40, v5
	s_mov_b32 s8, exec_lo
	;; [unrolled: 21-line block ×4, first 2 shown]
	v_cmpx_le_u32_e64 v46, v4
	s_cbranch_execz .LBB93_81
; %bb.96:                               ;   in Loop: Header=BB93_82 Depth=1
	s_waitcnt lgkmcnt(0)
	v_lshlrev_b32_e32 v4, 16, v48
	v_lshlrev_b32_e32 v5, 16, v5
	s_delay_alu instid0(VALU_DEP_1) | instskip(NEXT) | instid1(VALU_DEP_1)
	v_mul_f32_e32 v4, v5, v4
	v_bfe_u32 v5, v4, 16, 1
	v_cmp_o_f32_e32 vcc_lo, v4, v4
	s_delay_alu instid0(VALU_DEP_2) | instskip(NEXT) | instid1(VALU_DEP_1)
	v_add3_u32 v5, v4, v5, 0x7fff
	v_lshrrev_b32_e32 v5, 16, v5
	s_delay_alu instid0(VALU_DEP_1)
	v_cndmask_b32_e32 v47, 0x7fc0, v5, vcc_lo
	s_branch .LBB93_81
.LBB93_97:                              ;   in Loop: Header=BB93_82 Depth=1
                                        ; implicit-def: $vgpr47
                                        ; implicit-def: $vgpr34
	s_cbranch_execz .LBB93_82
; %bb.98:
	s_and_saveexec_b32 s8, s4
	s_cbranch_execz .LBB93_100
; %bb.99:
	v_lshlrev_b32_e32 v2, 16, v44
	v_dual_mov_b32 v4, 0 :: v_dual_lshlrev_b32 v3, 16, v33
	s_add_i32 s10, s15, 32
	s_mov_b32 s11, 0
	s_delay_alu instid0(VALU_DEP_1) | instskip(SKIP_1) | instid1(SALU_CYCLE_1)
	v_mul_f32_e32 v2, v3, v2
	s_lshl_b64 s[10:11], s[10:11], 2
	s_add_u32 s10, s16, s10
	s_addc_u32 s11, s17, s11
	s_delay_alu instid0(VALU_DEP_1) | instskip(SKIP_1) | instid1(VALU_DEP_2)
	v_bfe_u32 v3, v2, 16, 1
	v_cmp_o_f32_e32 vcc_lo, v2, v2
	v_add3_u32 v3, v2, v3, 0x7fff
	s_delay_alu instid0(VALU_DEP_1) | instskip(NEXT) | instid1(VALU_DEP_1)
	v_lshrrev_b32_e32 v3, 16, v3
	v_or_b32_e32 v3, 0x20000, v3
	s_delay_alu instid0(VALU_DEP_1)
	v_cndmask_b32_e32 v2, 0x27fc0, v3, vcc_lo
	global_store_b32 v4, v2, s[10:11]
.LBB93_100:
	s_or_b32 exec_lo, exec_lo, s8
	s_delay_alu instid0(SALU_CYCLE_1)
	s_and_b32 exec_lo, exec_lo, s3
	s_cbranch_execz .LBB93_102
; %bb.101:
	v_mov_b32_e32 v2, 0
	ds_store_b16 v2, v44
.LBB93_102:
	s_or_b32 exec_lo, exec_lo, s5
	v_mov_b32_e32 v2, 0
	s_waitcnt lgkmcnt(0)
	s_waitcnt_vscnt null, 0x0
	s_barrier
	buffer_gl0_inv
	ds_load_u16 v2, v2
	s_and_saveexec_b32 s3, s2
; %bb.103:
	v_lshlrev_b32_e32 v3, 16, v32
	s_delay_alu instid0(VALU_DEP_1) | instskip(NEXT) | instid1(VALU_DEP_1)
	v_mul_f32_e32 v3, v31, v3
	v_bfe_u32 v4, v3, 16, 1
	s_delay_alu instid0(VALU_DEP_1) | instskip(NEXT) | instid1(VALU_DEP_1)
	v_add3_u32 v4, v3, v4, 0x7fff
	v_and_b32_e32 v4, 0xffff0000, v4
	v_cmp_o_f32_e32 vcc_lo, v3, v3
	s_delay_alu instid0(VALU_DEP_2)
	v_cndmask_b32_e32 v31, 0x7fc00000, v4, vcc_lo
; %bb.104:
	s_or_b32 exec_lo, exec_lo, s3
	s_waitcnt lgkmcnt(0)
	v_lshlrev_b32_e32 v2, 16, v2
	s_delay_alu instid0(VALU_DEP_1) | instskip(NEXT) | instid1(VALU_DEP_1)
	v_mul_f32_e32 v2, v31, v2
	v_bfe_u32 v3, v2, 16, 1
	v_cmp_o_f32_e32 vcc_lo, v2, v2
	s_delay_alu instid0(VALU_DEP_2) | instskip(NEXT) | instid1(VALU_DEP_1)
	v_add3_u32 v3, v2, v3, 0x7fff
	v_lshrrev_b32_e32 v3, 16, v3
	s_delay_alu instid0(VALU_DEP_1) | instskip(NEXT) | instid1(VALU_DEP_1)
	v_cndmask_b32_e32 v2, 0x7fc0, v3, vcc_lo
	v_lshlrev_b32_e32 v3, 16, v2
	s_delay_alu instid0(VALU_DEP_1) | instskip(NEXT) | instid1(VALU_DEP_1)
	v_mul_f32_e32 v3, v29, v3
	v_bfe_u32 v4, v3, 16, 1
	v_cmp_o_f32_e32 vcc_lo, v3, v3
	s_delay_alu instid0(VALU_DEP_2) | instskip(NEXT) | instid1(VALU_DEP_1)
	v_add3_u32 v4, v3, v4, 0x7fff
	v_lshrrev_b32_e32 v4, 16, v4
	s_delay_alu instid0(VALU_DEP_1) | instskip(NEXT) | instid1(VALU_DEP_1)
	v_cndmask_b32_e32 v3, 0x7fc0, v4, vcc_lo
	;; [unrolled: 10-line block ×21, first 2 shown]
	v_lshlrev_b32_e32 v48, 16, v47
	s_delay_alu instid0(VALU_DEP_1) | instskip(NEXT) | instid1(VALU_DEP_1)
	v_mul_f32_e32 v48, v9, v48
	v_bfe_u32 v49, v48, 16, 1
	v_cmp_o_f32_e32 vcc_lo, v48, v48
	s_delay_alu instid0(VALU_DEP_2) | instskip(NEXT) | instid1(VALU_DEP_1)
	v_add3_u32 v49, v48, v49, 0x7fff
	v_lshrrev_b32_e32 v49, 16, v49
	s_delay_alu instid0(VALU_DEP_1)
	v_cndmask_b32_e32 v48, 0x7fc0, v49, vcc_lo
	s_load_b128 s[8:11], s[0:1], 0x30
	s_branch .LBB93_127
.LBB93_105:
                                        ; implicit-def: $vgpr2
                                        ; implicit-def: $vgpr3
                                        ; implicit-def: $vgpr4
                                        ; implicit-def: $vgpr5
                                        ; implicit-def: $vgpr31
                                        ; implicit-def: $vgpr32
                                        ; implicit-def: $vgpr33
                                        ; implicit-def: $vgpr34
                                        ; implicit-def: $vgpr35
                                        ; implicit-def: $vgpr36
                                        ; implicit-def: $vgpr37
                                        ; implicit-def: $vgpr38
                                        ; implicit-def: $vgpr39
                                        ; implicit-def: $vgpr40
                                        ; implicit-def: $vgpr41
                                        ; implicit-def: $vgpr42
                                        ; implicit-def: $vgpr43
                                        ; implicit-def: $vgpr44
                                        ; implicit-def: $vgpr45
                                        ; implicit-def: $vgpr46
                                        ; implicit-def: $vgpr47
                                        ; implicit-def: $vgpr48
	s_load_b128 s[8:11], s[0:1], 0x30
	s_cbranch_execz .LBB93_127
; %bb.106:
	s_load_b32 s2, s[0:1], 0x40
	v_cmp_eq_u32_e32 vcc_lo, 0, v0
	v_mov_b32_e32 v2, v1
	s_waitcnt lgkmcnt(0)
	s_bitcmp1_b32 s2, 0
	v_cmp_ne_u32_e64 s2, 0, v0
	s_cselect_b32 s3, -1, 0
	s_delay_alu instid0(SALU_CYCLE_1) | instskip(NEXT) | instid1(SALU_CYCLE_1)
	s_and_b32 s3, vcc_lo, s3
	s_and_saveexec_b32 s4, s3
	s_cbranch_execz .LBB93_108
; %bb.107:
	v_dual_mov_b32 v2, 0 :: v_dual_lshlrev_b32 v1, 16, v1
	global_load_u16 v2, v2, s[8:9]
	s_waitcnt vmcnt(0)
	v_lshlrev_b32_e32 v2, 16, v2
	s_delay_alu instid0(VALU_DEP_1) | instskip(NEXT) | instid1(VALU_DEP_1)
	v_mul_f32_e32 v1, v1, v2
	v_bfe_u32 v2, v1, 16, 1
	v_cmp_o_f32_e64 s3, v1, v1
	s_delay_alu instid0(VALU_DEP_2) | instskip(NEXT) | instid1(VALU_DEP_1)
	v_add3_u32 v2, v1, v2, 0x7fff
	v_lshrrev_b32_e32 v2, 16, v2
	s_delay_alu instid0(VALU_DEP_1)
	v_cndmask_b32_e64 v2, 0x7fc0, v2, s3
.LBB93_108:
	s_or_b32 exec_lo, exec_lo, s4
	s_delay_alu instid0(VALU_DEP_1) | instskip(SKIP_2) | instid1(VALU_DEP_2)
	v_lshlrev_b32_e32 v4, 16, v2
	v_add_lshl_u32 v30, v30, v0, 1
	s_mov_b32 s4, exec_lo
	v_mul_f32_e32 v1, v29, v4
	s_delay_alu instid0(VALU_DEP_1) | instskip(SKIP_1) | instid1(VALU_DEP_2)
	v_bfe_u32 v3, v1, 16, 1
	v_cmp_o_f32_e64 s3, v1, v1
	v_add3_u32 v3, v1, v3, 0x7fff
	s_delay_alu instid0(VALU_DEP_1) | instskip(NEXT) | instid1(VALU_DEP_1)
	v_and_b32_e32 v5, 0xffff0000, v3
	v_cndmask_b32_e64 v5, 0x7fc00000, v5, s3
	s_delay_alu instid0(VALU_DEP_1) | instskip(NEXT) | instid1(VALU_DEP_1)
	v_mul_f32_e32 v5, v5, v28
	v_bfe_u32 v31, v5, 16, 1
	v_cmp_o_f32_e64 s3, v5, v5
	s_delay_alu instid0(VALU_DEP_2) | instskip(NEXT) | instid1(VALU_DEP_1)
	v_add3_u32 v31, v5, v31, 0x7fff
	v_and_b32_e32 v31, 0xffff0000, v31
	s_delay_alu instid0(VALU_DEP_1) | instskip(NEXT) | instid1(VALU_DEP_1)
	v_cndmask_b32_e64 v5, 0x7fc00000, v31, s3
	v_mul_f32_e32 v5, v5, v27
	s_delay_alu instid0(VALU_DEP_1) | instskip(SKIP_1) | instid1(VALU_DEP_2)
	v_bfe_u32 v31, v5, 16, 1
	v_cmp_o_f32_e64 s3, v5, v5
	v_add3_u32 v31, v5, v31, 0x7fff
	s_delay_alu instid0(VALU_DEP_1) | instskip(NEXT) | instid1(VALU_DEP_1)
	v_and_b32_e32 v31, 0xffff0000, v31
	v_cndmask_b32_e64 v5, 0x7fc00000, v31, s3
	s_delay_alu instid0(VALU_DEP_1) | instskip(NEXT) | instid1(VALU_DEP_1)
	v_mul_f32_e32 v5, v5, v26
	v_bfe_u32 v31, v5, 16, 1
	v_cmp_o_f32_e64 s3, v5, v5
	s_delay_alu instid0(VALU_DEP_2) | instskip(NEXT) | instid1(VALU_DEP_1)
	v_add3_u32 v31, v5, v31, 0x7fff
	v_and_b32_e32 v31, 0xffff0000, v31
	s_delay_alu instid0(VALU_DEP_1) | instskip(NEXT) | instid1(VALU_DEP_1)
	v_cndmask_b32_e64 v5, 0x7fc00000, v31, s3
	v_mul_f32_e32 v5, v5, v25
	s_delay_alu instid0(VALU_DEP_1) | instskip(SKIP_1) | instid1(VALU_DEP_2)
	v_bfe_u32 v31, v5, 16, 1
	v_cmp_o_f32_e64 s3, v5, v5
	v_add3_u32 v31, v5, v31, 0x7fff
	s_delay_alu instid0(VALU_DEP_1) | instskip(NEXT) | instid1(VALU_DEP_1)
	v_and_b32_e32 v31, 0xffff0000, v31
	v_cndmask_b32_e64 v5, 0x7fc00000, v31, s3
	s_delay_alu instid0(VALU_DEP_1) | instskip(NEXT) | instid1(VALU_DEP_1)
	v_mul_f32_e32 v5, v5, v24
	v_bfe_u32 v31, v5, 16, 1
	v_cmp_o_f32_e64 s3, v5, v5
	s_delay_alu instid0(VALU_DEP_2) | instskip(NEXT) | instid1(VALU_DEP_1)
	v_add3_u32 v31, v5, v31, 0x7fff
	v_and_b32_e32 v31, 0xffff0000, v31
	s_delay_alu instid0(VALU_DEP_1) | instskip(NEXT) | instid1(VALU_DEP_1)
	v_cndmask_b32_e64 v5, 0x7fc00000, v31, s3
	v_mul_f32_e32 v5, v5, v23
	s_delay_alu instid0(VALU_DEP_1) | instskip(SKIP_1) | instid1(VALU_DEP_2)
	v_bfe_u32 v31, v5, 16, 1
	v_cmp_o_f32_e64 s3, v5, v5
	v_add3_u32 v31, v5, v31, 0x7fff
	s_delay_alu instid0(VALU_DEP_1) | instskip(NEXT) | instid1(VALU_DEP_1)
	v_and_b32_e32 v31, 0xffff0000, v31
	v_cndmask_b32_e64 v5, 0x7fc00000, v31, s3
	s_delay_alu instid0(VALU_DEP_1) | instskip(NEXT) | instid1(VALU_DEP_1)
	v_mul_f32_e32 v5, v5, v22
	v_bfe_u32 v31, v5, 16, 1
	v_cmp_o_f32_e64 s3, v5, v5
	s_delay_alu instid0(VALU_DEP_2) | instskip(NEXT) | instid1(VALU_DEP_1)
	v_add3_u32 v31, v5, v31, 0x7fff
	v_and_b32_e32 v31, 0xffff0000, v31
	s_delay_alu instid0(VALU_DEP_1) | instskip(NEXT) | instid1(VALU_DEP_1)
	v_cndmask_b32_e64 v5, 0x7fc00000, v31, s3
	v_mul_f32_e32 v5, v5, v21
	s_delay_alu instid0(VALU_DEP_1) | instskip(SKIP_1) | instid1(VALU_DEP_2)
	v_bfe_u32 v31, v5, 16, 1
	v_cmp_o_f32_e64 s3, v5, v5
	v_add3_u32 v31, v5, v31, 0x7fff
	s_delay_alu instid0(VALU_DEP_1) | instskip(NEXT) | instid1(VALU_DEP_1)
	v_and_b32_e32 v31, 0xffff0000, v31
	v_cndmask_b32_e64 v5, 0x7fc00000, v31, s3
	s_delay_alu instid0(VALU_DEP_1) | instskip(NEXT) | instid1(VALU_DEP_1)
	v_mul_f32_e32 v5, v5, v20
	v_bfe_u32 v31, v5, 16, 1
	v_cmp_o_f32_e64 s3, v5, v5
	s_delay_alu instid0(VALU_DEP_2) | instskip(NEXT) | instid1(VALU_DEP_1)
	v_add3_u32 v31, v5, v31, 0x7fff
	v_and_b32_e32 v31, 0xffff0000, v31
	s_delay_alu instid0(VALU_DEP_1) | instskip(NEXT) | instid1(VALU_DEP_1)
	v_cndmask_b32_e64 v5, 0x7fc00000, v31, s3
	v_mul_f32_e32 v5, v5, v19
	s_delay_alu instid0(VALU_DEP_1) | instskip(SKIP_1) | instid1(VALU_DEP_2)
	v_bfe_u32 v31, v5, 16, 1
	v_cmp_o_f32_e64 s3, v5, v5
	v_add3_u32 v31, v5, v31, 0x7fff
	s_delay_alu instid0(VALU_DEP_1) | instskip(NEXT) | instid1(VALU_DEP_1)
	v_and_b32_e32 v31, 0xffff0000, v31
	v_cndmask_b32_e64 v5, 0x7fc00000, v31, s3
	s_delay_alu instid0(VALU_DEP_1) | instskip(NEXT) | instid1(VALU_DEP_1)
	v_mul_f32_e32 v5, v5, v18
	v_bfe_u32 v31, v5, 16, 1
	v_cmp_o_f32_e64 s3, v5, v5
	s_delay_alu instid0(VALU_DEP_2) | instskip(NEXT) | instid1(VALU_DEP_1)
	v_add3_u32 v31, v5, v31, 0x7fff
	v_and_b32_e32 v31, 0xffff0000, v31
	s_delay_alu instid0(VALU_DEP_1) | instskip(NEXT) | instid1(VALU_DEP_1)
	v_cndmask_b32_e64 v5, 0x7fc00000, v31, s3
	v_mul_f32_e32 v5, v5, v17
	s_delay_alu instid0(VALU_DEP_1) | instskip(SKIP_1) | instid1(VALU_DEP_2)
	v_bfe_u32 v31, v5, 16, 1
	v_cmp_o_f32_e64 s3, v5, v5
	v_add3_u32 v31, v5, v31, 0x7fff
	s_delay_alu instid0(VALU_DEP_1) | instskip(NEXT) | instid1(VALU_DEP_1)
	v_and_b32_e32 v31, 0xffff0000, v31
	v_cndmask_b32_e64 v5, 0x7fc00000, v31, s3
	s_delay_alu instid0(VALU_DEP_1) | instskip(NEXT) | instid1(VALU_DEP_1)
	v_mul_f32_e32 v5, v5, v16
	v_bfe_u32 v31, v5, 16, 1
	v_cmp_o_f32_e64 s3, v5, v5
	s_delay_alu instid0(VALU_DEP_2) | instskip(NEXT) | instid1(VALU_DEP_1)
	v_add3_u32 v31, v5, v31, 0x7fff
	v_and_b32_e32 v31, 0xffff0000, v31
	s_delay_alu instid0(VALU_DEP_1) | instskip(NEXT) | instid1(VALU_DEP_1)
	v_cndmask_b32_e64 v5, 0x7fc00000, v31, s3
	v_mul_f32_e32 v5, v5, v15
	s_delay_alu instid0(VALU_DEP_1) | instskip(SKIP_1) | instid1(VALU_DEP_2)
	v_bfe_u32 v31, v5, 16, 1
	v_cmp_o_f32_e64 s3, v5, v5
	v_add3_u32 v31, v5, v31, 0x7fff
	s_delay_alu instid0(VALU_DEP_1) | instskip(NEXT) | instid1(VALU_DEP_1)
	v_and_b32_e32 v31, 0xffff0000, v31
	v_cndmask_b32_e64 v5, 0x7fc00000, v31, s3
	s_delay_alu instid0(VALU_DEP_1) | instskip(NEXT) | instid1(VALU_DEP_1)
	v_mul_f32_e32 v5, v5, v14
	v_bfe_u32 v31, v5, 16, 1
	v_cmp_o_f32_e64 s3, v5, v5
	s_delay_alu instid0(VALU_DEP_2) | instskip(NEXT) | instid1(VALU_DEP_1)
	v_add3_u32 v31, v5, v31, 0x7fff
	v_and_b32_e32 v31, 0xffff0000, v31
	s_delay_alu instid0(VALU_DEP_1) | instskip(NEXT) | instid1(VALU_DEP_1)
	v_cndmask_b32_e64 v5, 0x7fc00000, v31, s3
	v_mul_f32_e32 v5, v5, v13
	s_delay_alu instid0(VALU_DEP_1) | instskip(SKIP_1) | instid1(VALU_DEP_2)
	v_bfe_u32 v31, v5, 16, 1
	v_cmp_o_f32_e64 s3, v5, v5
	v_add3_u32 v31, v5, v31, 0x7fff
	s_delay_alu instid0(VALU_DEP_1) | instskip(NEXT) | instid1(VALU_DEP_1)
	v_and_b32_e32 v31, 0xffff0000, v31
	v_cndmask_b32_e64 v5, 0x7fc00000, v31, s3
	s_delay_alu instid0(VALU_DEP_1) | instskip(NEXT) | instid1(VALU_DEP_1)
	v_mul_f32_e32 v5, v5, v12
	v_bfe_u32 v31, v5, 16, 1
	v_cmp_o_f32_e64 s3, v5, v5
	s_delay_alu instid0(VALU_DEP_2) | instskip(NEXT) | instid1(VALU_DEP_1)
	v_add3_u32 v31, v5, v31, 0x7fff
	v_and_b32_e32 v31, 0xffff0000, v31
	s_delay_alu instid0(VALU_DEP_1) | instskip(NEXT) | instid1(VALU_DEP_1)
	v_cndmask_b32_e64 v5, 0x7fc00000, v31, s3
	v_mul_f32_e32 v5, v5, v11
	s_delay_alu instid0(VALU_DEP_1) | instskip(SKIP_1) | instid1(VALU_DEP_2)
	v_bfe_u32 v31, v5, 16, 1
	v_cmp_o_f32_e64 s3, v5, v5
	v_add3_u32 v31, v5, v31, 0x7fff
	s_delay_alu instid0(VALU_DEP_1) | instskip(NEXT) | instid1(VALU_DEP_1)
	v_and_b32_e32 v31, 0xffff0000, v31
	v_cndmask_b32_e64 v5, 0x7fc00000, v31, s3
	s_delay_alu instid0(VALU_DEP_1) | instskip(NEXT) | instid1(VALU_DEP_1)
	v_mul_f32_e32 v5, v5, v10
	v_bfe_u32 v31, v5, 16, 1
	v_cmp_o_f32_e64 s3, v5, v5
	s_delay_alu instid0(VALU_DEP_2) | instskip(NEXT) | instid1(VALU_DEP_1)
	v_add3_u32 v31, v5, v31, 0x7fff
	v_and_b32_e32 v31, 0xffff0000, v31
	s_delay_alu instid0(VALU_DEP_1) | instskip(NEXT) | instid1(VALU_DEP_1)
	v_cndmask_b32_e64 v5, 0x7fc00000, v31, s3
	v_mul_f32_e32 v5, v5, v9
	s_delay_alu instid0(VALU_DEP_1) | instskip(SKIP_1) | instid1(VALU_DEP_2)
	v_bfe_u32 v31, v5, 16, 1
	v_cmp_o_f32_e64 s3, v5, v5
	v_add3_u32 v31, v5, v31, 0x7fff
	s_delay_alu instid0(VALU_DEP_1) | instskip(NEXT) | instid1(VALU_DEP_1)
	v_lshrrev_b32_e32 v31, 16, v31
	v_cndmask_b32_e64 v5, 0x7fc0, v31, s3
	ds_store_b16 v30, v5
	s_waitcnt lgkmcnt(0)
	s_barrier
	buffer_gl0_inv
	v_cmpx_gt_u32_e32 32, v0
	s_cbranch_execz .LBB93_120
; %bb.109:
	v_lshrrev_b32_e32 v30, 3, v0
	s_mov_b32 s5, exec_lo
	s_delay_alu instid0(VALU_DEP_1) | instskip(NEXT) | instid1(VALU_DEP_1)
	v_and_b32_e32 v30, 6, v30
	v_lshl_or_b32 v30, v0, 2, v30
	ds_load_b32 v32, v30
	s_waitcnt lgkmcnt(0)
	v_and_b32_e32 v31, 0xffff0000, v32
	v_lshlrev_b32_e32 v32, 16, v32
	s_delay_alu instid0(VALU_DEP_1) | instskip(NEXT) | instid1(VALU_DEP_1)
	v_mul_f32_e32 v33, v32, v31
	v_bfe_u32 v34, v33, 16, 1
	v_cmp_o_f32_e64 s3, v33, v33
	s_delay_alu instid0(VALU_DEP_2) | instskip(SKIP_1) | instid1(VALU_DEP_2)
	v_add3_u32 v34, v33, v34, 0x7fff
	v_mbcnt_lo_u32_b32 v33, -1, 0
	v_lshrrev_b32_e32 v34, 16, v34
	s_delay_alu instid0(VALU_DEP_2) | instskip(NEXT) | instid1(VALU_DEP_2)
	v_and_b32_e32 v36, 15, v33
	v_cndmask_b32_e64 v34, 0x7fc0, v34, s3
	s_delay_alu instid0(VALU_DEP_1) | instskip(NEXT) | instid1(VALU_DEP_1)
	v_and_b32_e32 v35, 0xffff, v34
	v_mov_b32_dpp v37, v35 row_shr:1 row_mask:0xf bank_mask:0xf
	s_delay_alu instid0(VALU_DEP_4)
	v_cmpx_ne_u32_e32 0, v36
; %bb.110:
	s_delay_alu instid0(VALU_DEP_2) | instskip(SKIP_1) | instid1(VALU_DEP_1)
	v_lshlrev_b32_e32 v34, 16, v37
	v_lshlrev_b32_e32 v35, 16, v35
	v_mul_f32_e32 v34, v34, v35
	s_delay_alu instid0(VALU_DEP_1) | instskip(SKIP_1) | instid1(VALU_DEP_2)
	v_bfe_u32 v35, v34, 16, 1
	v_cmp_o_f32_e64 s3, v34, v34
	v_add3_u32 v35, v34, v35, 0x7fff
	s_delay_alu instid0(VALU_DEP_1) | instskip(NEXT) | instid1(VALU_DEP_1)
	v_lshrrev_b32_e32 v35, 16, v35
	v_cndmask_b32_e64 v34, 0x7fc0, v35, s3
	s_delay_alu instid0(VALU_DEP_1)
	v_and_b32_e32 v35, 0xffff, v34
; %bb.111:
	s_or_b32 exec_lo, exec_lo, s5
	s_delay_alu instid0(VALU_DEP_1)
	v_mov_b32_dpp v37, v35 row_shr:2 row_mask:0xf bank_mask:0xf
	s_mov_b32 s5, exec_lo
	v_cmpx_lt_u32_e32 1, v36
; %bb.112:
	s_delay_alu instid0(VALU_DEP_2) | instskip(SKIP_1) | instid1(VALU_DEP_1)
	v_lshlrev_b32_e32 v34, 16, v37
	v_lshlrev_b32_e32 v35, 16, v35
	v_mul_f32_e32 v34, v35, v34
	s_delay_alu instid0(VALU_DEP_1) | instskip(SKIP_1) | instid1(VALU_DEP_2)
	v_bfe_u32 v35, v34, 16, 1
	v_cmp_o_f32_e64 s3, v34, v34
	v_add3_u32 v35, v34, v35, 0x7fff
	s_delay_alu instid0(VALU_DEP_1) | instskip(NEXT) | instid1(VALU_DEP_1)
	v_lshrrev_b32_e32 v35, 16, v35
	v_cndmask_b32_e64 v34, 0x7fc0, v35, s3
	s_delay_alu instid0(VALU_DEP_1)
	v_and_b32_e32 v35, 0xffff, v34
; %bb.113:
	s_or_b32 exec_lo, exec_lo, s5
	s_delay_alu instid0(VALU_DEP_1)
	v_mov_b32_dpp v37, v35 row_shr:4 row_mask:0xf bank_mask:0xf
	s_mov_b32 s5, exec_lo
	v_cmpx_lt_u32_e32 3, v36
	;; [unrolled: 20-line block ×3, first 2 shown]
; %bb.116:
	s_delay_alu instid0(VALU_DEP_2) | instskip(SKIP_1) | instid1(VALU_DEP_1)
	v_lshlrev_b32_e32 v34, 16, v37
	v_lshlrev_b32_e32 v35, 16, v35
	v_mul_f32_e32 v34, v35, v34
	s_delay_alu instid0(VALU_DEP_1) | instskip(SKIP_1) | instid1(VALU_DEP_2)
	v_bfe_u32 v35, v34, 16, 1
	v_cmp_o_f32_e64 s3, v34, v34
	v_add3_u32 v35, v34, v35, 0x7fff
	s_delay_alu instid0(VALU_DEP_1) | instskip(NEXT) | instid1(VALU_DEP_1)
	v_lshrrev_b32_e32 v35, 16, v35
	v_cndmask_b32_e64 v34, 0x7fc0, v35, s3
	s_delay_alu instid0(VALU_DEP_1)
	v_and_b32_e32 v35, 0xffff, v34
; %bb.117:
	s_or_b32 exec_lo, exec_lo, s5
	ds_swizzle_b32 v36, v35 offset:swizzle(BROADCAST,32,15)
	v_and_b32_e32 v37, 16, v33
	s_mov_b32 s5, exec_lo
	s_delay_alu instid0(VALU_DEP_1)
	v_cmpx_ne_u32_e32 0, v37
	s_cbranch_execz .LBB93_119
; %bb.118:
	s_waitcnt lgkmcnt(0)
	v_lshlrev_b32_e32 v34, 16, v36
	v_lshlrev_b32_e32 v35, 16, v35
	s_delay_alu instid0(VALU_DEP_1) | instskip(NEXT) | instid1(VALU_DEP_1)
	v_mul_f32_e32 v34, v35, v34
	v_bfe_u32 v35, v34, 16, 1
	v_cmp_o_f32_e64 s3, v34, v34
	s_delay_alu instid0(VALU_DEP_2) | instskip(NEXT) | instid1(VALU_DEP_1)
	v_add3_u32 v35, v34, v35, 0x7fff
	v_lshrrev_b32_e32 v35, 16, v35
	s_delay_alu instid0(VALU_DEP_1)
	v_cndmask_b32_e64 v34, 0x7fc0, v35, s3
.LBB93_119:
	s_or_b32 exec_lo, exec_lo, s5
	v_add_nc_u32_e32 v35, -1, v33
	s_delay_alu instid0(VALU_DEP_2) | instskip(NEXT) | instid1(VALU_DEP_2)
	v_and_b32_e32 v34, 0xffff, v34
	v_cmp_gt_i32_e64 s3, 0, v35
	s_delay_alu instid0(VALU_DEP_1) | instskip(NEXT) | instid1(VALU_DEP_1)
	v_cndmask_b32_e64 v33, v35, v33, s3
	v_lshlrev_b32_e32 v33, 2, v33
	ds_bpermute_b32 v33, v33, v34
	s_waitcnt lgkmcnt(0)
	v_lshlrev_b32_e32 v33, 16, v33
	s_delay_alu instid0(VALU_DEP_1) | instskip(NEXT) | instid1(VALU_DEP_1)
	v_mul_f32_e32 v32, v32, v33
	v_bfe_u32 v33, v32, 16, 1
	v_cmp_o_f32_e64 s3, v32, v32
	s_delay_alu instid0(VALU_DEP_2) | instskip(NEXT) | instid1(VALU_DEP_1)
	v_add3_u32 v33, v32, v33, 0x7fff
	v_lshrrev_b32_e32 v33, 16, v33
	s_delay_alu instid0(VALU_DEP_1) | instskip(NEXT) | instid1(VALU_DEP_1)
	v_cndmask_b32_e64 v32, 0x7fc0, v33, s3
	v_cndmask_b32_e32 v32, v32, v5, vcc_lo
	s_delay_alu instid0(VALU_DEP_1) | instskip(NEXT) | instid1(VALU_DEP_1)
	v_lshlrev_b32_e32 v33, 16, v32
	v_mul_f32_e32 v31, v31, v33
	s_delay_alu instid0(VALU_DEP_1) | instskip(SKIP_1) | instid1(VALU_DEP_2)
	v_bfe_u32 v33, v31, 16, 1
	v_cmp_o_f32_e64 s3, v31, v31
	v_add3_u32 v33, v31, v33, 0x7fff
	s_delay_alu instid0(VALU_DEP_1) | instskip(NEXT) | instid1(VALU_DEP_1)
	v_lshrrev_b32_e32 v33, 16, v33
	v_cndmask_b32_e64 v31, 0x7fc0, v33, s3
	ds_store_b16 v30, v32
	ds_store_b16 v30, v31 offset:2
.LBB93_120:
	s_or_b32 exec_lo, exec_lo, s4
	s_waitcnt lgkmcnt(0)
	s_barrier
	buffer_gl0_inv
	s_and_saveexec_b32 s3, s2
	s_cbranch_execz .LBB93_122
; %bb.121:
	v_add_nc_u32_e32 v5, -1, v0
	s_delay_alu instid0(VALU_DEP_1) | instskip(NEXT) | instid1(VALU_DEP_1)
	v_lshrrev_b32_e32 v30, 5, v5
	v_add_lshl_u32 v5, v30, v5, 1
	ds_load_u16 v5, v5
.LBB93_122:
	s_or_b32 exec_lo, exec_lo, s3
	s_and_saveexec_b32 s3, s2
	s_cbranch_execz .LBB93_124
; %bb.123:
	s_waitcnt lgkmcnt(0)
	v_lshlrev_b32_e32 v1, 16, v5
	s_delay_alu instid0(VALU_DEP_1) | instskip(NEXT) | instid1(VALU_DEP_1)
	v_mul_f32_e32 v1, v4, v1
	v_bfe_u32 v2, v1, 16, 1
	v_cmp_o_f32_e64 s2, v1, v1
	s_delay_alu instid0(VALU_DEP_2) | instskip(NEXT) | instid1(VALU_DEP_1)
	v_add3_u32 v2, v1, v2, 0x7fff
	v_lshrrev_b32_e32 v2, 16, v2
	s_delay_alu instid0(VALU_DEP_1) | instskip(NEXT) | instid1(VALU_DEP_1)
	v_cndmask_b32_e64 v2, 0x7fc0, v2, s2
	v_lshlrev_b32_e32 v1, 16, v2
	s_delay_alu instid0(VALU_DEP_1) | instskip(NEXT) | instid1(VALU_DEP_1)
	v_mul_f32_e32 v1, v29, v1
	v_bfe_u32 v3, v1, 16, 1
	s_delay_alu instid0(VALU_DEP_1)
	v_add3_u32 v3, v1, v3, 0x7fff
.LBB93_124:
	s_or_b32 exec_lo, exec_lo, s3
	s_delay_alu instid0(VALU_DEP_1) | instskip(SKIP_1) | instid1(VALU_DEP_1)
	v_lshrrev_b32_e32 v3, 16, v3
	v_cmp_o_f32_e64 s2, v1, v1
	v_cndmask_b32_e64 v3, 0x7fc0, v3, s2
	s_delay_alu instid0(VALU_DEP_1) | instskip(NEXT) | instid1(VALU_DEP_1)
	v_lshlrev_b32_e32 v1, 16, v3
	v_mul_f32_e32 v1, v28, v1
	s_delay_alu instid0(VALU_DEP_1) | instskip(SKIP_1) | instid1(VALU_DEP_2)
	v_bfe_u32 v4, v1, 16, 1
	v_cmp_o_f32_e64 s2, v1, v1
	v_add3_u32 v4, v1, v4, 0x7fff
	s_delay_alu instid0(VALU_DEP_1) | instskip(NEXT) | instid1(VALU_DEP_1)
	v_lshrrev_b32_e32 v4, 16, v4
	v_cndmask_b32_e64 v4, 0x7fc0, v4, s2
	s_delay_alu instid0(VALU_DEP_1) | instskip(NEXT) | instid1(VALU_DEP_1)
	v_lshlrev_b32_e32 v1, 16, v4
	v_mul_f32_e32 v1, v27, v1
	s_waitcnt lgkmcnt(0)
	s_delay_alu instid0(VALU_DEP_1) | instskip(SKIP_1) | instid1(VALU_DEP_2)
	v_bfe_u32 v5, v1, 16, 1
	v_cmp_o_f32_e64 s2, v1, v1
	v_add3_u32 v5, v1, v5, 0x7fff
	s_delay_alu instid0(VALU_DEP_1) | instskip(NEXT) | instid1(VALU_DEP_1)
	v_lshrrev_b32_e32 v5, 16, v5
	v_cndmask_b32_e64 v5, 0x7fc0, v5, s2
	s_delay_alu instid0(VALU_DEP_1) | instskip(NEXT) | instid1(VALU_DEP_1)
	v_lshlrev_b32_e32 v1, 16, v5
	v_mul_f32_e32 v1, v26, v1
	s_delay_alu instid0(VALU_DEP_1) | instskip(SKIP_1) | instid1(VALU_DEP_2)
	v_bfe_u32 v26, v1, 16, 1
	v_cmp_o_f32_e64 s2, v1, v1
	v_add3_u32 v26, v1, v26, 0x7fff
	s_delay_alu instid0(VALU_DEP_1) | instskip(NEXT) | instid1(VALU_DEP_1)
	v_lshrrev_b32_e32 v26, 16, v26
	v_cndmask_b32_e64 v31, 0x7fc0, v26, s2
	s_delay_alu instid0(VALU_DEP_1) | instskip(NEXT) | instid1(VALU_DEP_1)
	v_lshlrev_b32_e32 v1, 16, v31
	v_mul_f32_e32 v1, v25, v1
	;; [unrolled: 10-line block ×18, first 2 shown]
	s_delay_alu instid0(VALU_DEP_1) | instskip(SKIP_1) | instid1(VALU_DEP_2)
	v_bfe_u32 v1, v9, 16, 1
	v_cmp_o_f32_e64 s2, v9, v9
	v_add3_u32 v1, v9, v1, 0x7fff
	s_delay_alu instid0(VALU_DEP_1)
	v_lshrrev_b32_e32 v1, 16, v1
	s_and_saveexec_b32 s3, vcc_lo
	s_cbranch_execz .LBB93_126
; %bb.125:
	v_mov_b32_e32 v9, 0
	ds_load_u16 v10, v9 offset:128
	s_waitcnt lgkmcnt(0)
	v_or_b32_e32 v10, 0x20000, v10
	global_store_b32 v9, v10, s[16:17] offset:128
.LBB93_126:
	s_or_b32 exec_lo, exec_lo, s3
	s_delay_alu instid0(VALU_DEP_1)
	v_cndmask_b32_e64 v48, 0x7fc0, v1, s2
.LBB93_127:
	v_perm_b32 v1, v5, v4, 0x5040100
	v_perm_b32 v2, v3, v2, 0x5040100
	;; [unrolled: 1-line block ×11, first 2 shown]
	s_add_u32 s2, s6, s12
	s_addc_u32 s3, s7, s13
	s_and_b32 vcc_lo, exec_lo, s19
	s_mov_b32 s4, -1
	s_waitcnt lgkmcnt(0)
	s_waitcnt_vscnt null, 0x0
	s_barrier
	buffer_gl0_inv
	s_cbranch_vccz .LBB93_129
; %bb.128:
	ds_store_2addr_b32 v8, v2, v1 offset1:1
	ds_store_2addr_b32 v8, v4, v3 offset0:2 offset1:3
	ds_store_2addr_b32 v8, v9, v5 offset0:4 offset1:5
	;; [unrolled: 1-line block ×4, first 2 shown]
	ds_store_b32 v8, v14 offset:40
	s_waitcnt lgkmcnt(0)
	s_barrier
	buffer_gl0_inv
	ds_load_u16 v15, v6
	ds_load_u16 v16, v6 offset:128
	ds_load_u16 v17, v6 offset:256
	ds_load_u16 v18, v6 offset:384
	ds_load_u16 v19, v6 offset:512
	ds_load_u16 v20, v6 offset:640
	ds_load_u16 v21, v6 offset:768
	ds_load_u16 v22, v6 offset:896
	ds_load_u16 v23, v6 offset:1024
	ds_load_u16 v24, v6 offset:1152
	ds_load_u16 v25, v6 offset:1280
	ds_load_u16 v26, v6 offset:1408
	ds_load_u16 v27, v6 offset:1536
	ds_load_u16 v28, v6 offset:1664
	ds_load_u16 v29, v6 offset:1792
	ds_load_u16 v30, v6 offset:1920
	ds_load_u16 v31, v6 offset:2048
	ds_load_u16 v32, v6 offset:2176
	ds_load_u16 v33, v6 offset:2304
	ds_load_u16 v34, v6 offset:2432
	ds_load_u16 v35, v6 offset:2560
	ds_load_u16 v36, v6 offset:2688
	s_mov_b32 s4, 0
	s_waitcnt lgkmcnt(21)
	global_store_b16 v6, v15, s[2:3]
	s_waitcnt lgkmcnt(20)
	global_store_b16 v6, v16, s[2:3] offset:128
	s_waitcnt lgkmcnt(19)
	global_store_b16 v6, v17, s[2:3] offset:256
	;; [unrolled: 2-line block ×21, first 2 shown]
.LBB93_129:
	s_and_not1_b32 vcc_lo, exec_lo, s4
	s_cbranch_vccnz .LBB93_256
; %bb.130:
	ds_store_2addr_b32 v8, v2, v1 offset1:1
	ds_store_2addr_b32 v8, v4, v3 offset0:2 offset1:3
	ds_store_2addr_b32 v8, v9, v5 offset0:4 offset1:5
	;; [unrolled: 1-line block ×4, first 2 shown]
	ds_store_b32 v8, v14 offset:40
	s_waitcnt lgkmcnt(0)
	s_waitcnt_vscnt null, 0x0
	s_barrier
	buffer_gl0_inv
	ds_load_u16 v5, v6
	ds_load_u16 v4, v6 offset:128
	ds_load_u16 v9, v6 offset:256
	;; [unrolled: 1-line block ×21, first 2 shown]
	v_add_co_u32 v2, s2, s2, v6
	v_mov_b32_e32 v1, 0
	v_add_co_ci_u32_e64 v3, null, s3, 0, s2
	s_mov_b32 s2, exec_lo
	v_cmpx_gt_u32_e64 s14, v0
	s_cbranch_execz .LBB93_132
; %bb.131:
	s_waitcnt lgkmcnt(21)
	global_store_b16 v[2:3], v5, off
.LBB93_132:
	s_or_b32 exec_lo, exec_lo, s2
	v_or_b32_e32 v6, 64, v0
	s_mov_b32 s2, exec_lo
	s_delay_alu instid0(VALU_DEP_1)
	v_cmpx_gt_u32_e64 s14, v6
	s_cbranch_execz .LBB93_134
; %bb.133:
	s_waitcnt lgkmcnt(20)
	global_store_b16 v[2:3], v4, off offset:128
.LBB93_134:
	s_or_b32 exec_lo, exec_lo, s2
	v_or_b32_e32 v6, 0x80, v0
	s_mov_b32 s2, exec_lo
	s_delay_alu instid0(VALU_DEP_1)
	v_cmpx_gt_u32_e64 s14, v6
	s_cbranch_execz .LBB93_136
; %bb.135:
	s_waitcnt lgkmcnt(19)
	global_store_b16 v[2:3], v9, off offset:256
.LBB93_136:
	;; [unrolled: 10-line block ×21, first 2 shown]
	s_or_b32 exec_lo, exec_lo, s2
	s_load_b32 s0, s[0:1], 0x40
	s_waitcnt lgkmcnt(0)
	s_bfe_u32 s0, s0, 0x10008
	s_delay_alu instid0(SALU_CYCLE_1)
	s_cmp_eq_u32 s0, 0
	s_cbranch_scc1 .LBB93_256
; %bb.175:
	s_add_u32 s0, s14, -1
	s_addc_u32 s1, s18, -1
	s_add_u32 s2, 0, 0x2e8b0a00
	s_addc_u32 s3, 0, 42
	s_mul_hi_u32 s5, s2, 0xffffffea
	s_add_i32 s3, s3, 0xba2e890
	s_sub_i32 s5, s5, s2
	s_mul_i32 s6, s3, 0xffffffea
	s_mul_i32 s4, s2, 0xffffffea
	s_add_i32 s5, s5, s6
	s_mul_hi_u32 s7, s3, s4
	s_mul_i32 s6, s3, s4
	s_mul_i32 s8, s2, s5
	s_mul_hi_u32 s4, s2, s4
	s_mul_hi_u32 s9, s2, s5
	s_add_u32 s4, s4, s8
	s_addc_u32 s8, 0, s9
	s_mul_hi_u32 s9, s3, s5
	s_add_u32 s4, s4, s6
	s_addc_u32 s4, s8, s7
	s_mul_i32 s5, s3, s5
	s_addc_u32 s6, s9, 0
	s_add_u32 s4, s4, s5
	s_delay_alu instid0(SALU_CYCLE_1) | instskip(SKIP_2) | instid1(VALU_DEP_1)
	v_add_co_u32 v2, s2, s2, s4
	s_addc_u32 s4, 0, s6
	s_cmp_lg_u32 s2, 0
	v_readfirstlane_b32 s2, v2
	s_addc_u32 s3, s3, s4
	s_delay_alu instid0(SALU_CYCLE_1) | instskip(SKIP_1) | instid1(VALU_DEP_1)
	s_mul_i32 s4, s0, s3
	s_mul_hi_u32 s6, s0, s3
	s_mul_hi_u32 s5, s0, s2
	s_mul_i32 s7, s1, s2
	s_add_u32 s4, s5, s4
	s_addc_u32 s5, 0, s6
	s_mul_hi_u32 s2, s1, s2
	s_mul_hi_u32 s6, s1, s3
	s_add_u32 s4, s4, s7
	s_addc_u32 s2, s5, s2
	s_mul_i32 s3, s1, s3
	s_addc_u32 s4, s6, 0
	s_add_u32 s2, s2, s3
	s_addc_u32 s3, 0, s4
	s_mul_i32 s5, s2, 22
	s_add_u32 s4, s2, 1
	v_sub_co_u32 v2, s5, s0, s5
	s_addc_u32 s6, s3, 0
	s_mul_i32 s8, s3, 22
	s_mul_hi_u32 s12, s2, 22
	s_delay_alu instid0(VALU_DEP_1)
	v_sub_co_u32 v3, s9, v2, 22
	s_add_u32 s7, s2, 2
	s_addc_u32 s13, s3, 0
	s_add_i32 s12, s12, s8
	s_cmp_lg_u32 s5, 0
	v_readfirstlane_b32 s5, v3
	s_subb_u32 s8, s1, s12
	s_cmp_lg_u32 s9, 0
	s_subb_u32 s9, s8, 0
	s_delay_alu instid0(VALU_DEP_1) | instskip(SKIP_4) | instid1(SALU_CYCLE_1)
	s_cmp_gt_u32 s5, 21
	s_cselect_b32 s5, -1, 0
	s_cmp_eq_u32 s9, 0
	v_readfirstlane_b32 s9, v2
	s_cselect_b32 s5, s5, -1
	s_cmp_lg_u32 s5, 0
	s_cselect_b32 s4, s7, s4
	s_cselect_b32 s5, s13, s6
	s_cmp_gt_u32 s9, 21
	s_cselect_b32 s6, -1, 0
	s_cmp_eq_u32 s8, 0
	s_cselect_b32 s6, s6, -1
	s_delay_alu instid0(SALU_CYCLE_1) | instskip(SKIP_2) | instid1(SALU_CYCLE_1)
	s_cmp_lg_u32 s6, 0
	s_cselect_b32 s3, s5, s3
	s_cselect_b32 s2, s4, s2
	v_cmp_eq_u64_e32 vcc_lo, s[2:3], v[0:1]
	s_and_saveexec_b32 s2, vcc_lo
	s_cbranch_execz .LBB93_256
; %bb.176:
	v_mul_hi_u32_u24_e32 v1, 22, v0
	v_sub_co_u32 v0, vcc_lo, s0, v7
	s_mov_b32 s0, 0
	s_mov_b32 s2, 0
	s_delay_alu instid0(VALU_DEP_2) | instskip(SKIP_1) | instid1(VALU_DEP_1)
	v_sub_co_ci_u32_e32 v1, vcc_lo, s1, v1, vcc_lo
	s_mov_b32 s1, exec_lo
	v_cmpx_lt_i64_e32 10, v[0:1]
	s_xor_b32 s1, exec_lo, s1
	s_cbranch_execnz .LBB93_180
; %bb.177:
	s_or_saveexec_b32 s1, s1
	s_mov_b32 s3, 0
	s_xor_b32 exec_lo, exec_lo, s1
	s_cbranch_execnz .LBB93_221
.LBB93_178:
	s_or_b32 exec_lo, exec_lo, s1
	s_and_saveexec_b32 s1, s2
	s_cbranch_execnz .LBB93_232
.LBB93_179:
	s_or_b32 exec_lo, exec_lo, s1
	s_and_saveexec_b32 s1, s0
	s_cbranch_execnz .LBB93_233
	s_branch .LBB93_237
.LBB93_180:
	s_mov_b32 s3, 0
	s_mov_b32 s2, exec_lo
	v_cmpx_lt_i64_e32 15, v[0:1]
	s_xor_b32 s2, exec_lo, s2
	s_cbranch_execz .LBB93_202
; %bb.181:
	s_mov_b32 s4, exec_lo
                                        ; implicit-def: $vgpr14
	v_cmpx_lt_i64_e32 18, v[0:1]
	s_xor_b32 s4, exec_lo, s4
	s_cbranch_execz .LBB93_191
; %bb.182:
	s_mov_b32 s5, 0
	s_mov_b32 s3, exec_lo
                                        ; implicit-def: $vgpr14
	v_cmpx_lt_i64_e32 19, v[0:1]
	s_xor_b32 s3, exec_lo, s3
	s_cbranch_execz .LBB93_188
; %bb.183:
	s_mov_b32 s5, exec_lo
	v_cmpx_lt_i64_e32 20, v[0:1]
	s_xor_b32 s5, exec_lo, s5
	s_cbranch_execz .LBB93_185
; %bb.184:
	v_mov_b32_e32 v2, 0
                                        ; implicit-def: $vgpr21
	global_store_b16 v2, v27, s[10:11]
.LBB93_185:
	s_or_saveexec_b32 s5, s5
	s_mov_b32 s6, 0
	s_xor_b32 exec_lo, exec_lo, s5
; %bb.186:
	s_delay_alu instid0(SALU_CYCLE_1)
	s_mov_b32 s6, exec_lo
; %bb.187:
	s_or_b32 exec_lo, exec_lo, s5
	v_mov_b32_e32 v14, v21
	s_and_b32 s5, s6, exec_lo
                                        ; implicit-def: $vgpr26
.LBB93_188:
	s_and_not1_saveexec_b32 s3, s3
	s_cbranch_execz .LBB93_190
; %bb.189:
	v_mov_b32_e32 v2, 0
                                        ; implicit-def: $vgpr14
	global_store_b16 v2, v26, s[10:11]
.LBB93_190:
	s_or_b32 exec_lo, exec_lo, s3
	s_delay_alu instid0(SALU_CYCLE_1)
	s_and_b32 s3, s5, exec_lo
                                        ; implicit-def: $vgpr23
                                        ; implicit-def: $vgpr20
                                        ; implicit-def: $vgpr25
.LBB93_191:
	s_and_not1_saveexec_b32 s4, s4
	s_cbranch_execz .LBB93_201
; %bb.192:
	s_mov_b32 s5, exec_lo
	v_cmpx_lt_i64_e32 16, v[0:1]
	s_xor_b32 s5, exec_lo, s5
	s_cbranch_execz .LBB93_198
; %bb.193:
	s_mov_b32 s6, exec_lo
	v_cmpx_lt_i64_e32 17, v[0:1]
	s_xor_b32 s6, exec_lo, s6
	s_cbranch_execz .LBB93_195
; %bb.194:
	v_mov_b32_e32 v2, 0
                                        ; implicit-def: $vgpr20
	global_store_b16 v2, v25, s[10:11]
.LBB93_195:
	s_and_not1_saveexec_b32 s6, s6
	s_cbranch_execz .LBB93_197
; %bb.196:
	v_mov_b32_e32 v2, 0
	global_store_b16 v2, v20, s[10:11]
.LBB93_197:
	s_or_b32 exec_lo, exec_lo, s6
                                        ; implicit-def: $vgpr23
.LBB93_198:
	s_and_not1_saveexec_b32 s5, s5
	s_cbranch_execz .LBB93_200
; %bb.199:
	v_mov_b32_e32 v2, 0
	global_store_b16 v2, v23, s[10:11]
.LBB93_200:
	s_or_b32 exec_lo, exec_lo, s5
                                        ; implicit-def: $vgpr14
.LBB93_201:
	s_delay_alu instid0(SALU_CYCLE_1) | instskip(NEXT) | instid1(SALU_CYCLE_1)
	s_or_b32 exec_lo, exec_lo, s4
	s_and_b32 s3, s3, exec_lo
                                        ; implicit-def: $vgpr22
                                        ; implicit-def: $vgpr19
                                        ; implicit-def: $vgpr18
                                        ; implicit-def: $vgpr24
.LBB93_202:
	s_and_not1_saveexec_b32 s2, s2
	s_cbranch_execz .LBB93_220
; %bb.203:
	s_mov_b32 s4, exec_lo
	v_cmpx_lt_i64_e32 12, v[0:1]
	s_xor_b32 s4, exec_lo, s4
	s_cbranch_execz .LBB93_213
; %bb.204:
	s_mov_b32 s5, exec_lo
	v_cmpx_lt_i64_e32 13, v[0:1]
	s_xor_b32 s5, exec_lo, s5
	;; [unrolled: 5-line block ×3, first 2 shown]
	s_cbranch_execz .LBB93_207
; %bb.206:
	v_mov_b32_e32 v2, 0
                                        ; implicit-def: $vgpr18
	global_store_b16 v2, v24, s[10:11]
.LBB93_207:
	s_and_not1_saveexec_b32 s6, s6
	s_cbranch_execz .LBB93_209
; %bb.208:
	v_mov_b32_e32 v2, 0
	global_store_b16 v2, v18, s[10:11]
.LBB93_209:
	s_or_b32 exec_lo, exec_lo, s6
                                        ; implicit-def: $vgpr22
.LBB93_210:
	s_and_not1_saveexec_b32 s5, s5
	s_cbranch_execz .LBB93_212
; %bb.211:
	v_mov_b32_e32 v2, 0
	global_store_b16 v2, v22, s[10:11]
.LBB93_212:
	s_or_b32 exec_lo, exec_lo, s5
                                        ; implicit-def: $vgpr14
                                        ; implicit-def: $vgpr19
.LBB93_213:
	s_or_saveexec_b32 s4, s4
	s_mov_b32 s5, s3
	s_xor_b32 exec_lo, exec_lo, s4
	s_cbranch_execz .LBB93_219
; %bb.214:
	s_mov_b32 s5, exec_lo
	v_cmpx_lt_i64_e32 11, v[0:1]
	s_xor_b32 s5, exec_lo, s5
	s_cbranch_execz .LBB93_216
; %bb.215:
	v_mov_b32_e32 v2, 0
                                        ; implicit-def: $vgpr14
	global_store_b16 v2, v19, s[10:11]
.LBB93_216:
	s_or_saveexec_b32 s5, s5
	s_mov_b32 s6, s3
	s_xor_b32 exec_lo, exec_lo, s5
; %bb.217:
	s_delay_alu instid0(SALU_CYCLE_1)
	s_or_b32 s6, s3, exec_lo
; %bb.218:
	s_or_b32 exec_lo, exec_lo, s5
	s_delay_alu instid0(SALU_CYCLE_1) | instskip(SKIP_1) | instid1(SALU_CYCLE_1)
	s_and_not1_b32 s5, s3, exec_lo
	s_and_b32 s6, s6, exec_lo
	s_or_b32 s5, s5, s6
.LBB93_219:
	s_or_b32 exec_lo, exec_lo, s4
	s_delay_alu instid0(SALU_CYCLE_1) | instskip(SKIP_1) | instid1(SALU_CYCLE_1)
	s_and_not1_b32 s3, s3, exec_lo
	s_and_b32 s4, s5, exec_lo
	s_or_b32 s3, s3, s4
.LBB93_220:
	s_or_b32 exec_lo, exec_lo, s2
	s_delay_alu instid0(SALU_CYCLE_1)
	s_and_b32 s2, s3, exec_lo
                                        ; implicit-def: $vgpr16
                                        ; implicit-def: $vgpr17
                                        ; implicit-def: $vgpr15
	s_or_saveexec_b32 s1, s1
	s_mov_b32 s3, 0
	s_xor_b32 exec_lo, exec_lo, s1
	s_cbranch_execz .LBB93_178
.LBB93_221:
	s_mov_b32 s4, 0
	s_mov_b32 s3, -1
	s_mov_b32 s5, s2
	s_mov_b32 s0, exec_lo
                                        ; implicit-def: $vgpr14
	v_cmpx_lt_i64_e32 5, v[0:1]
	s_cbranch_execz .LBB93_231
; %bb.222:
	s_mov_b32 s4, -1
	s_mov_b32 s5, s2
	s_mov_b32 s3, exec_lo
	v_cmpx_lt_i64_e32 7, v[0:1]
	s_cbranch_execz .LBB93_230
; %bb.223:
	s_mov_b32 s4, exec_lo
	v_cmpx_lt_i64_e32 8, v[0:1]
	s_cbranch_execz .LBB93_229
; %bb.224:
	s_mov_b32 s5, exec_lo
	v_cmpx_lt_i64_e32 9, v[0:1]
	s_xor_b32 s5, exec_lo, s5
; %bb.225:
                                        ; implicit-def: $vgpr17
; %bb.226:
	s_delay_alu instid0(SALU_CYCLE_1)
	s_and_not1_saveexec_b32 s5, s5
; %bb.227:
	v_mov_b32_e32 v15, v17
; %bb.228:
	s_or_b32 exec_lo, exec_lo, s5
	s_delay_alu instid0(VALU_DEP_1)
	v_mov_b32_e32 v16, v15
.LBB93_229:
	s_or_b32 exec_lo, exec_lo, s4
	s_delay_alu instid0(SALU_CYCLE_1)
	s_xor_b32 s4, exec_lo, -1
	s_or_b32 s5, s2, exec_lo
.LBB93_230:
	s_or_b32 exec_lo, exec_lo, s3
	v_mov_b32_e32 v14, v16
	s_and_not1_b32 s6, s2, exec_lo
	s_and_b32 s5, s5, exec_lo
	s_xor_b32 s3, exec_lo, -1
	s_and_b32 s4, s4, exec_lo
	s_or_b32 s5, s6, s5
.LBB93_231:
	s_or_b32 exec_lo, exec_lo, s0
	s_delay_alu instid0(SALU_CYCLE_1)
	s_and_not1_b32 s2, s2, exec_lo
	s_and_b32 s5, s5, exec_lo
	s_and_b32 s3, s3, exec_lo
	;; [unrolled: 1-line block ×3, first 2 shown]
	s_or_b32 s2, s2, s5
	s_or_b32 exec_lo, exec_lo, s1
	s_and_saveexec_b32 s1, s2
	s_cbranch_execz .LBB93_179
.LBB93_232:
	v_mov_b32_e32 v2, 0
	global_store_b16 v2, v14, s[10:11]
	s_or_b32 exec_lo, exec_lo, s1
	s_and_saveexec_b32 s1, s0
	s_cbranch_execz .LBB93_237
.LBB93_233:
	s_mov_b32 s0, exec_lo
	v_cmpx_lt_i64_e32 6, v[0:1]
	s_xor_b32 s0, exec_lo, s0
	s_cbranch_execz .LBB93_235
; %bb.234:
	v_mov_b32_e32 v2, 0
                                        ; implicit-def: $vgpr12
	global_store_b16 v2, v13, s[10:11]
.LBB93_235:
	s_and_not1_saveexec_b32 s0, s0
	s_cbranch_execz .LBB93_237
; %bb.236:
	v_mov_b32_e32 v2, 0
	global_store_b16 v2, v12, s[10:11]
.LBB93_237:
	s_or_b32 exec_lo, exec_lo, s1
	s_delay_alu instid0(SALU_CYCLE_1)
	s_and_b32 exec_lo, exec_lo, s3
	s_cbranch_execz .LBB93_256
; %bb.238:
	s_mov_b32 s0, exec_lo
	v_cmpx_lt_i64_e32 2, v[0:1]
	s_xor_b32 s0, exec_lo, s0
	s_cbranch_execz .LBB93_248
; %bb.239:
	s_mov_b32 s1, exec_lo
	v_cmpx_lt_i64_e32 3, v[0:1]
	s_xor_b32 s1, exec_lo, s1
	;; [unrolled: 5-line block ×3, first 2 shown]
	s_cbranch_execz .LBB93_242
; %bb.241:
	v_mov_b32_e32 v0, 0
                                        ; implicit-def: $vgpr8
	global_store_b16 v0, v11, s[10:11]
.LBB93_242:
	s_and_not1_saveexec_b32 s2, s2
	s_cbranch_execz .LBB93_244
; %bb.243:
	v_mov_b32_e32 v0, 0
	global_store_b16 v0, v8, s[10:11]
.LBB93_244:
	s_or_b32 exec_lo, exec_lo, s2
                                        ; implicit-def: $vgpr10
.LBB93_245:
	s_and_not1_saveexec_b32 s1, s1
	s_cbranch_execz .LBB93_247
; %bb.246:
	v_mov_b32_e32 v0, 0
	global_store_b16 v0, v10, s[10:11]
.LBB93_247:
	s_or_b32 exec_lo, exec_lo, s1
                                        ; implicit-def: $vgpr0_vgpr1
                                        ; implicit-def: $vgpr9
                                        ; implicit-def: $vgpr4
                                        ; implicit-def: $vgpr5
.LBB93_248:
	s_and_not1_saveexec_b32 s0, s0
	s_cbranch_execz .LBB93_256
; %bb.249:
	s_mov_b32 s0, exec_lo
	v_cmpx_lt_i64_e32 1, v[0:1]
	s_xor_b32 s0, exec_lo, s0
	s_cbranch_execz .LBB93_251
; %bb.250:
	v_mov_b32_e32 v0, 0
                                        ; implicit-def: $vgpr4
                                        ; implicit-def: $vgpr5
	global_store_b16 v0, v9, s[10:11]
                                        ; implicit-def: $vgpr0_vgpr1
.LBB93_251:
	s_and_not1_saveexec_b32 s0, s0
	s_cbranch_execz .LBB93_256
; %bb.252:
	s_mov_b32 s0, exec_lo
	v_cmpx_ne_u64_e32 1, v[0:1]
	s_xor_b32 s0, exec_lo, s0
	s_cbranch_execz .LBB93_254
; %bb.253:
	v_mov_b32_e32 v0, 0
                                        ; implicit-def: $vgpr4
	global_store_b16 v0, v5, s[10:11]
.LBB93_254:
	s_and_not1_saveexec_b32 s0, s0
	s_cbranch_execz .LBB93_256
; %bb.255:
	v_mov_b32_e32 v0, 0
	global_store_b16 v0, v4, s[10:11]
.LBB93_256:
	s_nop 0
	s_sendmsg sendmsg(MSG_DEALLOC_VGPRS)
	s_endpgm
	.section	.rodata,"a",@progbits
	.p2align	6, 0x0
	.amdhsa_kernel _ZN7rocprim17ROCPRIM_304000_NS6detail20lookback_scan_kernelILNS1_25lookback_scan_determinismE0ELb0ENS1_19wrapped_scan_configINS0_14default_configEN3c108BFloat16EEEPKS7_PS7_St10multipliesIS7_ES7_S7_NS1_19lookback_scan_stateIS7_Lb0ELb1EEEEEvT2_T3_mT5_T4_T7_jPT6_SM_bb
		.amdhsa_group_segment_fixed_size 2816
		.amdhsa_private_segment_fixed_size 0
		.amdhsa_kernarg_size 68
		.amdhsa_user_sgpr_count 15
		.amdhsa_user_sgpr_dispatch_ptr 0
		.amdhsa_user_sgpr_queue_ptr 0
		.amdhsa_user_sgpr_kernarg_segment_ptr 1
		.amdhsa_user_sgpr_dispatch_id 0
		.amdhsa_user_sgpr_private_segment_size 0
		.amdhsa_wavefront_size32 1
		.amdhsa_uses_dynamic_stack 0
		.amdhsa_enable_private_segment 0
		.amdhsa_system_sgpr_workgroup_id_x 1
		.amdhsa_system_sgpr_workgroup_id_y 0
		.amdhsa_system_sgpr_workgroup_id_z 0
		.amdhsa_system_sgpr_workgroup_info 0
		.amdhsa_system_vgpr_workitem_id 0
		.amdhsa_next_free_vgpr 50
		.amdhsa_next_free_sgpr 20
		.amdhsa_reserve_vcc 1
		.amdhsa_float_round_mode_32 0
		.amdhsa_float_round_mode_16_64 0
		.amdhsa_float_denorm_mode_32 3
		.amdhsa_float_denorm_mode_16_64 3
		.amdhsa_dx10_clamp 1
		.amdhsa_ieee_mode 1
		.amdhsa_fp16_overflow 0
		.amdhsa_workgroup_processor_mode 1
		.amdhsa_memory_ordered 1
		.amdhsa_forward_progress 0
		.amdhsa_shared_vgpr_count 0
		.amdhsa_exception_fp_ieee_invalid_op 0
		.amdhsa_exception_fp_denorm_src 0
		.amdhsa_exception_fp_ieee_div_zero 0
		.amdhsa_exception_fp_ieee_overflow 0
		.amdhsa_exception_fp_ieee_underflow 0
		.amdhsa_exception_fp_ieee_inexact 0
		.amdhsa_exception_int_div_zero 0
	.end_amdhsa_kernel
	.section	.text._ZN7rocprim17ROCPRIM_304000_NS6detail20lookback_scan_kernelILNS1_25lookback_scan_determinismE0ELb0ENS1_19wrapped_scan_configINS0_14default_configEN3c108BFloat16EEEPKS7_PS7_St10multipliesIS7_ES7_S7_NS1_19lookback_scan_stateIS7_Lb0ELb1EEEEEvT2_T3_mT5_T4_T7_jPT6_SM_bb,"axG",@progbits,_ZN7rocprim17ROCPRIM_304000_NS6detail20lookback_scan_kernelILNS1_25lookback_scan_determinismE0ELb0ENS1_19wrapped_scan_configINS0_14default_configEN3c108BFloat16EEEPKS7_PS7_St10multipliesIS7_ES7_S7_NS1_19lookback_scan_stateIS7_Lb0ELb1EEEEEvT2_T3_mT5_T4_T7_jPT6_SM_bb,comdat
.Lfunc_end93:
	.size	_ZN7rocprim17ROCPRIM_304000_NS6detail20lookback_scan_kernelILNS1_25lookback_scan_determinismE0ELb0ENS1_19wrapped_scan_configINS0_14default_configEN3c108BFloat16EEEPKS7_PS7_St10multipliesIS7_ES7_S7_NS1_19lookback_scan_stateIS7_Lb0ELb1EEEEEvT2_T3_mT5_T4_T7_jPT6_SM_bb, .Lfunc_end93-_ZN7rocprim17ROCPRIM_304000_NS6detail20lookback_scan_kernelILNS1_25lookback_scan_determinismE0ELb0ENS1_19wrapped_scan_configINS0_14default_configEN3c108BFloat16EEEPKS7_PS7_St10multipliesIS7_ES7_S7_NS1_19lookback_scan_stateIS7_Lb0ELb1EEEEEvT2_T3_mT5_T4_T7_jPT6_SM_bb
                                        ; -- End function
	.section	.AMDGPU.csdata,"",@progbits
; Kernel info:
; codeLenInByte = 14732
; NumSgprs: 22
; NumVgprs: 50
; ScratchSize: 0
; MemoryBound: 0
; FloatMode: 240
; IeeeMode: 1
; LDSByteSize: 2816 bytes/workgroup (compile time only)
; SGPRBlocks: 2
; VGPRBlocks: 6
; NumSGPRsForWavesPerEU: 22
; NumVGPRsForWavesPerEU: 50
; Occupancy: 16
; WaveLimiterHint : 1
; COMPUTE_PGM_RSRC2:SCRATCH_EN: 0
; COMPUTE_PGM_RSRC2:USER_SGPR: 15
; COMPUTE_PGM_RSRC2:TRAP_HANDLER: 0
; COMPUTE_PGM_RSRC2:TGID_X_EN: 1
; COMPUTE_PGM_RSRC2:TGID_Y_EN: 0
; COMPUTE_PGM_RSRC2:TGID_Z_EN: 0
; COMPUTE_PGM_RSRC2:TIDIG_COMP_CNT: 0
	.section	.text._ZN7rocprim17ROCPRIM_304000_NS6detail16transform_kernelINS1_24wrapped_transform_configINS0_14default_configEN3c108BFloat16EEES6_PS6_S8_NS0_8identityIS6_EEEEvT1_mT2_T3_,"axG",@progbits,_ZN7rocprim17ROCPRIM_304000_NS6detail16transform_kernelINS1_24wrapped_transform_configINS0_14default_configEN3c108BFloat16EEES6_PS6_S8_NS0_8identityIS6_EEEEvT1_mT2_T3_,comdat
	.protected	_ZN7rocprim17ROCPRIM_304000_NS6detail16transform_kernelINS1_24wrapped_transform_configINS0_14default_configEN3c108BFloat16EEES6_PS6_S8_NS0_8identityIS6_EEEEvT1_mT2_T3_ ; -- Begin function _ZN7rocprim17ROCPRIM_304000_NS6detail16transform_kernelINS1_24wrapped_transform_configINS0_14default_configEN3c108BFloat16EEES6_PS6_S8_NS0_8identityIS6_EEEEvT1_mT2_T3_
	.globl	_ZN7rocprim17ROCPRIM_304000_NS6detail16transform_kernelINS1_24wrapped_transform_configINS0_14default_configEN3c108BFloat16EEES6_PS6_S8_NS0_8identityIS6_EEEEvT1_mT2_T3_
	.p2align	8
	.type	_ZN7rocprim17ROCPRIM_304000_NS6detail16transform_kernelINS1_24wrapped_transform_configINS0_14default_configEN3c108BFloat16EEES6_PS6_S8_NS0_8identityIS6_EEEEvT1_mT2_T3_,@function
_ZN7rocprim17ROCPRIM_304000_NS6detail16transform_kernelINS1_24wrapped_transform_configINS0_14default_configEN3c108BFloat16EEES6_PS6_S8_NS0_8identityIS6_EEEEvT1_mT2_T3_: ; @_ZN7rocprim17ROCPRIM_304000_NS6detail16transform_kernelINS1_24wrapped_transform_configINS0_14default_configEN3c108BFloat16EEES6_PS6_S8_NS0_8identityIS6_EEEEvT1_mT2_T3_
; %bb.0:
	s_clause 0x2
	s_load_b32 s10, s[0:1], 0x20
	s_load_b128 s[4:7], s[0:1], 0x0
	s_load_b64 s[0:1], s[0:1], 0x10
	s_mov_b32 s9, 0
	s_lshl_b32 s8, s15, 11
	v_lshlrev_b32_e32 v3, 1, v0
	s_lshl_b64 s[2:3], s[8:9], 1
	s_waitcnt lgkmcnt(0)
	s_add_i32 s10, s10, -1
	s_add_u32 s4, s4, s2
	s_addc_u32 s5, s5, s3
	v_add_co_u32 v1, s4, s4, v3
	s_delay_alu instid0(VALU_DEP_1)
	v_add_co_ci_u32_e64 v2, null, s5, 0, s4
	s_cmp_lg_u32 s15, s10
	s_mov_b32 s4, -1
	s_cbranch_scc0 .LBB94_2
; %bb.1:
	s_clause 0x1
	global_load_u16 v5, v[1:2], off
	global_load_u16 v4, v[1:2], off offset:2048
	s_add_u32 s10, s0, s2
	s_addc_u32 s11, s1, s3
	s_mov_b32 s9, -1
	s_waitcnt vmcnt(1)
	global_store_b16 v3, v5, s[10:11]
	s_cbranch_execz .LBB94_3
	s_branch .LBB94_10
.LBB94_2:
                                        ; implicit-def: $vgpr4
	s_and_not1_b32 vcc_lo, exec_lo, s4
	s_cbranch_vccnz .LBB94_10
.LBB94_3:
	s_sub_i32 s4, s6, s8
                                        ; implicit-def: $vgpr5
	s_delay_alu instid0(SALU_CYCLE_1)
	v_cmp_gt_u32_e32 vcc_lo, s4, v0
	s_and_saveexec_b32 s5, vcc_lo
	s_cbranch_execz .LBB94_5
; %bb.4:
	global_load_u16 v5, v[1:2], off
.LBB94_5:
	s_or_b32 exec_lo, exec_lo, s5
	v_or_b32_e32 v0, 0x400, v0
                                        ; implicit-def: $vgpr4
	s_delay_alu instid0(VALU_DEP_1) | instskip(NEXT) | instid1(VALU_DEP_1)
	v_cmp_gt_u32_e64 s9, s4, v0
	s_and_saveexec_b32 s4, s9
	s_cbranch_execz .LBB94_7
; %bb.6:
	global_load_u16 v4, v[1:2], off offset:2048
.LBB94_7:
	s_or_b32 exec_lo, exec_lo, s4
	s_and_saveexec_b32 s4, vcc_lo
	s_delay_alu instid0(SALU_CYCLE_1)
	s_xor_b32 s4, exec_lo, s4
	s_cbranch_execz .LBB94_9
; %bb.8:
	s_add_u32 s6, s0, s2
	s_addc_u32 s7, s1, s3
	s_waitcnt vmcnt(0)
	global_store_b16 v3, v5, s[6:7]
.LBB94_9:
	s_or_b32 exec_lo, exec_lo, s4
.LBB94_10:
	s_and_saveexec_b32 s4, s9
	s_cbranch_execnz .LBB94_12
; %bb.11:
	s_nop 0
	s_sendmsg sendmsg(MSG_DEALLOC_VGPRS)
	s_endpgm
.LBB94_12:
	s_add_u32 s0, s0, s2
	s_addc_u32 s1, s1, s3
	s_waitcnt vmcnt(0)
	global_store_b16 v3, v4, s[0:1] offset:2048
	s_nop 0
	s_sendmsg sendmsg(MSG_DEALLOC_VGPRS)
	s_endpgm
	.section	.rodata,"a",@progbits
	.p2align	6, 0x0
	.amdhsa_kernel _ZN7rocprim17ROCPRIM_304000_NS6detail16transform_kernelINS1_24wrapped_transform_configINS0_14default_configEN3c108BFloat16EEES6_PS6_S8_NS0_8identityIS6_EEEEvT1_mT2_T3_
		.amdhsa_group_segment_fixed_size 0
		.amdhsa_private_segment_fixed_size 0
		.amdhsa_kernarg_size 288
		.amdhsa_user_sgpr_count 15
		.amdhsa_user_sgpr_dispatch_ptr 0
		.amdhsa_user_sgpr_queue_ptr 0
		.amdhsa_user_sgpr_kernarg_segment_ptr 1
		.amdhsa_user_sgpr_dispatch_id 0
		.amdhsa_user_sgpr_private_segment_size 0
		.amdhsa_wavefront_size32 1
		.amdhsa_uses_dynamic_stack 0
		.amdhsa_enable_private_segment 0
		.amdhsa_system_sgpr_workgroup_id_x 1
		.amdhsa_system_sgpr_workgroup_id_y 0
		.amdhsa_system_sgpr_workgroup_id_z 0
		.amdhsa_system_sgpr_workgroup_info 0
		.amdhsa_system_vgpr_workitem_id 0
		.amdhsa_next_free_vgpr 6
		.amdhsa_next_free_sgpr 16
		.amdhsa_reserve_vcc 1
		.amdhsa_float_round_mode_32 0
		.amdhsa_float_round_mode_16_64 0
		.amdhsa_float_denorm_mode_32 3
		.amdhsa_float_denorm_mode_16_64 3
		.amdhsa_dx10_clamp 1
		.amdhsa_ieee_mode 1
		.amdhsa_fp16_overflow 0
		.amdhsa_workgroup_processor_mode 1
		.amdhsa_memory_ordered 1
		.amdhsa_forward_progress 0
		.amdhsa_shared_vgpr_count 0
		.amdhsa_exception_fp_ieee_invalid_op 0
		.amdhsa_exception_fp_denorm_src 0
		.amdhsa_exception_fp_ieee_div_zero 0
		.amdhsa_exception_fp_ieee_overflow 0
		.amdhsa_exception_fp_ieee_underflow 0
		.amdhsa_exception_fp_ieee_inexact 0
		.amdhsa_exception_int_div_zero 0
	.end_amdhsa_kernel
	.section	.text._ZN7rocprim17ROCPRIM_304000_NS6detail16transform_kernelINS1_24wrapped_transform_configINS0_14default_configEN3c108BFloat16EEES6_PS6_S8_NS0_8identityIS6_EEEEvT1_mT2_T3_,"axG",@progbits,_ZN7rocprim17ROCPRIM_304000_NS6detail16transform_kernelINS1_24wrapped_transform_configINS0_14default_configEN3c108BFloat16EEES6_PS6_S8_NS0_8identityIS6_EEEEvT1_mT2_T3_,comdat
.Lfunc_end94:
	.size	_ZN7rocprim17ROCPRIM_304000_NS6detail16transform_kernelINS1_24wrapped_transform_configINS0_14default_configEN3c108BFloat16EEES6_PS6_S8_NS0_8identityIS6_EEEEvT1_mT2_T3_, .Lfunc_end94-_ZN7rocprim17ROCPRIM_304000_NS6detail16transform_kernelINS1_24wrapped_transform_configINS0_14default_configEN3c108BFloat16EEES6_PS6_S8_NS0_8identityIS6_EEEEvT1_mT2_T3_
                                        ; -- End function
	.section	.AMDGPU.csdata,"",@progbits
; Kernel info:
; codeLenInByte = 316
; NumSgprs: 18
; NumVgprs: 6
; ScratchSize: 0
; MemoryBound: 0
; FloatMode: 240
; IeeeMode: 1
; LDSByteSize: 0 bytes/workgroup (compile time only)
; SGPRBlocks: 2
; VGPRBlocks: 0
; NumSGPRsForWavesPerEU: 18
; NumVGPRsForWavesPerEU: 6
; Occupancy: 16
; WaveLimiterHint : 1
; COMPUTE_PGM_RSRC2:SCRATCH_EN: 0
; COMPUTE_PGM_RSRC2:USER_SGPR: 15
; COMPUTE_PGM_RSRC2:TRAP_HANDLER: 0
; COMPUTE_PGM_RSRC2:TGID_X_EN: 1
; COMPUTE_PGM_RSRC2:TGID_Y_EN: 0
; COMPUTE_PGM_RSRC2:TGID_Z_EN: 0
; COMPUTE_PGM_RSRC2:TIDIG_COMP_CNT: 0
	.section	.text._ZN7rocprim17ROCPRIM_304000_NS6detail18single_scan_kernelILb0ENS1_19wrapped_scan_configINS0_14default_configEN3c108BFloat16EEEPKS6_PS6_St10multipliesIS6_ES6_S6_EEvT1_mT4_T2_T3_,"axG",@progbits,_ZN7rocprim17ROCPRIM_304000_NS6detail18single_scan_kernelILb0ENS1_19wrapped_scan_configINS0_14default_configEN3c108BFloat16EEEPKS6_PS6_St10multipliesIS6_ES6_S6_EEvT1_mT4_T2_T3_,comdat
	.protected	_ZN7rocprim17ROCPRIM_304000_NS6detail18single_scan_kernelILb0ENS1_19wrapped_scan_configINS0_14default_configEN3c108BFloat16EEEPKS6_PS6_St10multipliesIS6_ES6_S6_EEvT1_mT4_T2_T3_ ; -- Begin function _ZN7rocprim17ROCPRIM_304000_NS6detail18single_scan_kernelILb0ENS1_19wrapped_scan_configINS0_14default_configEN3c108BFloat16EEEPKS6_PS6_St10multipliesIS6_ES6_S6_EEvT1_mT4_T2_T3_
	.globl	_ZN7rocprim17ROCPRIM_304000_NS6detail18single_scan_kernelILb0ENS1_19wrapped_scan_configINS0_14default_configEN3c108BFloat16EEEPKS6_PS6_St10multipliesIS6_ES6_S6_EEvT1_mT4_T2_T3_
	.p2align	8
	.type	_ZN7rocprim17ROCPRIM_304000_NS6detail18single_scan_kernelILb0ENS1_19wrapped_scan_configINS0_14default_configEN3c108BFloat16EEEPKS6_PS6_St10multipliesIS6_ES6_S6_EEvT1_mT4_T2_T3_,@function
_ZN7rocprim17ROCPRIM_304000_NS6detail18single_scan_kernelILb0ENS1_19wrapped_scan_configINS0_14default_configEN3c108BFloat16EEEPKS6_PS6_St10multipliesIS6_ES6_S6_EEvT1_mT4_T2_T3_: ; @_ZN7rocprim17ROCPRIM_304000_NS6detail18single_scan_kernelILb0ENS1_19wrapped_scan_configINS0_14default_configEN3c108BFloat16EEEPKS6_PS6_St10multipliesIS6_ES6_S6_EEvT1_mT4_T2_T3_
; %bb.0:
	s_load_b128 s[20:23], s[0:1], 0x0
	v_mov_b32_e32 v1, 0
	v_lshlrev_b32_e32 v3, 1, v0
	s_waitcnt lgkmcnt(0)
	global_load_u16 v4, v1, s[20:21]
	v_add_co_u32 v1, s2, s20, v3
	s_delay_alu instid0(VALU_DEP_1)
	v_add_co_ci_u32_e64 v2, null, s21, 0, s2
	v_cmp_gt_u32_e32 vcc_lo, s22, v0
	s_waitcnt vmcnt(0)
	v_mov_b32_e32 v5, v4
	s_and_saveexec_b32 s2, vcc_lo
	s_cbranch_execz .LBB95_2
; %bb.1:
	global_load_u16 v5, v[1:2], off
.LBB95_2:
	s_or_b32 exec_lo, exec_lo, s2
	v_or_b32_e32 v6, 64, v0
	s_delay_alu instid0(VALU_DEP_1) | instskip(SKIP_1) | instid1(VALU_DEP_2)
	v_cmp_gt_u32_e64 s2, s22, v6
	v_mov_b32_e32 v6, v4
	s_and_saveexec_b32 s3, s2
	s_cbranch_execz .LBB95_4
; %bb.3:
	global_load_u16 v6, v[1:2], off offset:128
.LBB95_4:
	s_or_b32 exec_lo, exec_lo, s3
	v_or_b32_e32 v7, 0x80, v0
	s_delay_alu instid0(VALU_DEP_1) | instskip(SKIP_1) | instid1(VALU_DEP_2)
	v_cmp_gt_u32_e64 s3, s22, v7
	v_mov_b32_e32 v7, v4
	s_and_saveexec_b32 s4, s3
	s_cbranch_execz .LBB95_6
; %bb.5:
	global_load_u16 v7, v[1:2], off offset:256
.LBB95_6:
	;; [unrolled: 10-line block ×20, first 2 shown]
	s_or_b32 exec_lo, exec_lo, s23
	v_or_b32_e32 v26, 0x540, v0
	s_delay_alu instid0(VALU_DEP_1) | instskip(NEXT) | instid1(VALU_DEP_1)
	v_cmp_gt_u32_e64 s22, s22, v26
	s_and_saveexec_b32 s23, s22
	s_cbranch_execz .LBB95_44
; %bb.43:
	global_load_u16 v4, v[1:2], off offset:2688
.LBB95_44:
	s_or_b32 exec_lo, exec_lo, s23
	v_mad_u32_u24 v26, v0, 42, v3
	s_waitcnt vmcnt(0)
	ds_store_b16 v3, v5
	ds_store_b16 v3, v6 offset:128
	ds_store_b16 v3, v7 offset:256
	;; [unrolled: 1-line block ×21, first 2 shown]
	s_waitcnt lgkmcnt(0)
	s_barrier
	buffer_gl0_inv
	ds_load_2addr_b32 v[1:2], v26 offset1:1
	ds_load_2addr_b32 v[9:10], v26 offset0:2 offset1:3
	ds_load_2addr_b32 v[15:16], v26 offset0:4 offset1:5
	;; [unrolled: 1-line block ×4, first 2 shown]
	ds_load_b32 v26, v26 offset:40
	v_lshrrev_b32_e32 v29, 4, v0
	s_mov_b32 s24, exec_lo
	s_waitcnt lgkmcnt(0)
	s_barrier
	buffer_gl0_inv
	v_and_b32_e32 v29, 2, v29
	s_delay_alu instid0(VALU_DEP_1) | instskip(SKIP_2) | instid1(VALU_DEP_1)
	v_add_nc_u32_e32 v29, v3, v29
	v_and_b32_e32 v8, 0xffff0000, v1
	v_lshlrev_b32_e32 v14, 16, v1
	v_mul_f32_e32 v7, v14, v8
	s_delay_alu instid0(VALU_DEP_1) | instskip(NEXT) | instid1(VALU_DEP_1)
	v_bfe_u32 v4, v7, 16, 1
	v_add3_u32 v11, v7, v4, 0x7fff
	v_lshlrev_b32_e32 v4, 16, v2
	v_cmp_o_f32_e64 s23, v7, v7
	v_and_b32_e32 v2, 0xffff0000, v2
	s_delay_alu instid0(VALU_DEP_4) | instskip(NEXT) | instid1(VALU_DEP_1)
	v_and_b32_e32 v5, 0xffff0000, v11
	v_cndmask_b32_e64 v5, 0x7fc00000, v5, s23
	s_delay_alu instid0(VALU_DEP_1) | instskip(NEXT) | instid1(VALU_DEP_1)
	v_mul_f32_e32 v5, v5, v4
	v_bfe_u32 v6, v5, 16, 1
	v_cmp_o_f32_e64 s23, v5, v5
	s_delay_alu instid0(VALU_DEP_2) | instskip(NEXT) | instid1(VALU_DEP_1)
	v_add3_u32 v6, v5, v6, 0x7fff
	v_and_b32_e32 v6, 0xffff0000, v6
	s_delay_alu instid0(VALU_DEP_1) | instskip(NEXT) | instid1(VALU_DEP_1)
	v_cndmask_b32_e64 v5, 0x7fc00000, v6, s23
	v_mul_f32_e32 v6, v5, v2
	s_delay_alu instid0(VALU_DEP_1) | instskip(NEXT) | instid1(VALU_DEP_1)
	v_bfe_u32 v5, v6, 16, 1
	v_add3_u32 v5, v6, v5, 0x7fff
	s_delay_alu instid0(VALU_DEP_1) | instskip(SKIP_2) | instid1(VALU_DEP_1)
	v_and_b32_e32 v12, 0xffff0000, v5
	v_lshlrev_b32_e32 v5, 16, v9
	v_cmp_o_f32_e64 s23, v6, v6
	v_cndmask_b32_e64 v6, 0x7fc00000, v12, s23
	s_delay_alu instid0(VALU_DEP_1) | instskip(NEXT) | instid1(VALU_DEP_1)
	v_mul_f32_e32 v12, v6, v5
	v_bfe_u32 v6, v12, 16, 1
	s_delay_alu instid0(VALU_DEP_1) | instskip(NEXT) | instid1(VALU_DEP_1)
	v_add3_u32 v6, v12, v6, 0x7fff
	v_and_b32_e32 v13, 0xffff0000, v6
	v_cmp_o_f32_e64 s23, v12, v12
	v_and_b32_e32 v6, 0xffff0000, v9
	s_delay_alu instid0(VALU_DEP_2) | instskip(NEXT) | instid1(VALU_DEP_1)
	v_cndmask_b32_e64 v9, 0x7fc00000, v13, s23
	v_mul_f32_e32 v12, v9, v6
	s_delay_alu instid0(VALU_DEP_1) | instskip(SKIP_1) | instid1(VALU_DEP_2)
	v_bfe_u32 v9, v12, 16, 1
	v_cmp_o_f32_e64 s23, v12, v12
	v_add3_u32 v9, v12, v9, 0x7fff
	s_delay_alu instid0(VALU_DEP_1) | instskip(SKIP_2) | instid1(VALU_DEP_3)
	v_and_b32_e32 v13, 0xffff0000, v9
	v_lshlrev_b32_e32 v9, 16, v10
	v_and_b32_e32 v10, 0xffff0000, v10
	v_cndmask_b32_e64 v12, 0x7fc00000, v13, s23
	s_delay_alu instid0(VALU_DEP_1) | instskip(NEXT) | instid1(VALU_DEP_1)
	v_mul_f32_e32 v12, v12, v9
	v_bfe_u32 v13, v12, 16, 1
	v_cmp_o_f32_e64 s23, v12, v12
	s_delay_alu instid0(VALU_DEP_2) | instskip(NEXT) | instid1(VALU_DEP_1)
	v_add3_u32 v13, v12, v13, 0x7fff
	v_and_b32_e32 v13, 0xffff0000, v13
	s_delay_alu instid0(VALU_DEP_1) | instskip(NEXT) | instid1(VALU_DEP_1)
	v_cndmask_b32_e64 v12, 0x7fc00000, v13, s23
	v_mul_f32_e32 v13, v12, v10
	s_delay_alu instid0(VALU_DEP_1) | instskip(SKIP_1) | instid1(VALU_DEP_2)
	v_bfe_u32 v12, v13, 16, 1
	v_cmp_o_f32_e64 s23, v13, v13
	v_add3_u32 v12, v13, v12, 0x7fff
	s_delay_alu instid0(VALU_DEP_1) | instskip(SKIP_1) | instid1(VALU_DEP_2)
	v_and_b32_e32 v17, 0xffff0000, v12
	v_lshlrev_b32_e32 v12, 16, v15
	v_cndmask_b32_e64 v13, 0x7fc00000, v17, s23
	s_delay_alu instid0(VALU_DEP_1) | instskip(NEXT) | instid1(VALU_DEP_1)
	v_mul_f32_e32 v17, v13, v12
	v_bfe_u32 v13, v17, 16, 1
	v_cmp_o_f32_e64 s23, v17, v17
	s_delay_alu instid0(VALU_DEP_2) | instskip(NEXT) | instid1(VALU_DEP_1)
	v_add3_u32 v13, v17, v13, 0x7fff
	v_and_b32_e32 v18, 0xffff0000, v13
	v_and_b32_e32 v13, 0xffff0000, v15
	s_delay_alu instid0(VALU_DEP_2) | instskip(NEXT) | instid1(VALU_DEP_1)
	v_cndmask_b32_e64 v15, 0x7fc00000, v18, s23
	v_mul_f32_e32 v17, v15, v13
	s_delay_alu instid0(VALU_DEP_1) | instskip(SKIP_1) | instid1(VALU_DEP_2)
	v_bfe_u32 v15, v17, 16, 1
	v_cmp_o_f32_e64 s23, v17, v17
	v_add3_u32 v15, v17, v15, 0x7fff
	s_delay_alu instid0(VALU_DEP_1) | instskip(SKIP_2) | instid1(VALU_DEP_3)
	v_and_b32_e32 v18, 0xffff0000, v15
	v_lshlrev_b32_e32 v15, 16, v16
	v_and_b32_e32 v16, 0xffff0000, v16
	v_cndmask_b32_e64 v17, 0x7fc00000, v18, s23
	s_delay_alu instid0(VALU_DEP_1) | instskip(NEXT) | instid1(VALU_DEP_1)
	v_mul_f32_e32 v17, v17, v15
	v_bfe_u32 v18, v17, 16, 1
	v_cmp_o_f32_e64 s23, v17, v17
	s_delay_alu instid0(VALU_DEP_2) | instskip(NEXT) | instid1(VALU_DEP_1)
	v_add3_u32 v18, v17, v18, 0x7fff
	v_and_b32_e32 v18, 0xffff0000, v18
	s_delay_alu instid0(VALU_DEP_1) | instskip(NEXT) | instid1(VALU_DEP_1)
	v_cndmask_b32_e64 v17, 0x7fc00000, v18, s23
	v_mul_f32_e32 v18, v17, v16
	s_delay_alu instid0(VALU_DEP_1) | instskip(SKIP_1) | instid1(VALU_DEP_2)
	v_bfe_u32 v17, v18, 16, 1
	v_cmp_o_f32_e64 s23, v18, v18
	v_add3_u32 v17, v18, v17, 0x7fff
	s_delay_alu instid0(VALU_DEP_1) | instskip(SKIP_1) | instid1(VALU_DEP_2)
	v_and_b32_e32 v21, 0xffff0000, v17
	v_lshlrev_b32_e32 v17, 16, v19
	v_cndmask_b32_e64 v18, 0x7fc00000, v21, s23
	s_delay_alu instid0(VALU_DEP_1) | instskip(NEXT) | instid1(VALU_DEP_1)
	v_mul_f32_e32 v21, v18, v17
	v_bfe_u32 v18, v21, 16, 1
	v_cmp_o_f32_e64 s23, v21, v21
	s_delay_alu instid0(VALU_DEP_2) | instskip(NEXT) | instid1(VALU_DEP_1)
	v_add3_u32 v18, v21, v18, 0x7fff
	v_and_b32_e32 v22, 0xffff0000, v18
	;; [unrolled: 38-line block ×3, first 2 shown]
	v_and_b32_e32 v22, 0xffff0000, v23
	s_delay_alu instid0(VALU_DEP_2) | instskip(NEXT) | instid1(VALU_DEP_1)
	v_cndmask_b32_e64 v23, 0x7fc00000, v27, s23
	v_mul_f32_e32 v25, v23, v22
	s_delay_alu instid0(VALU_DEP_1) | instskip(SKIP_1) | instid1(VALU_DEP_2)
	v_bfe_u32 v23, v25, 16, 1
	v_cmp_o_f32_e64 s23, v25, v25
	v_add3_u32 v23, v25, v23, 0x7fff
	s_delay_alu instid0(VALU_DEP_1) | instskip(SKIP_2) | instid1(VALU_DEP_3)
	v_and_b32_e32 v27, 0xffff0000, v23
	v_lshlrev_b32_e32 v23, 16, v24
	v_and_b32_e32 v24, 0xffff0000, v24
	v_cndmask_b32_e64 v25, 0x7fc00000, v27, s23
	s_delay_alu instid0(VALU_DEP_1) | instskip(NEXT) | instid1(VALU_DEP_1)
	v_mul_f32_e32 v25, v25, v23
	v_bfe_u32 v27, v25, 16, 1
	v_cmp_o_f32_e64 s23, v25, v25
	s_delay_alu instid0(VALU_DEP_2) | instskip(NEXT) | instid1(VALU_DEP_1)
	v_add3_u32 v27, v25, v27, 0x7fff
	v_and_b32_e32 v27, 0xffff0000, v27
	s_delay_alu instid0(VALU_DEP_1) | instskip(NEXT) | instid1(VALU_DEP_1)
	v_cndmask_b32_e64 v25, 0x7fc00000, v27, s23
	v_mul_f32_e32 v27, v25, v24
	s_delay_alu instid0(VALU_DEP_1) | instskip(SKIP_1) | instid1(VALU_DEP_2)
	v_bfe_u32 v25, v27, 16, 1
	v_cmp_o_f32_e64 s23, v27, v27
	v_add3_u32 v25, v27, v25, 0x7fff
	s_delay_alu instid0(VALU_DEP_1) | instskip(SKIP_2) | instid1(VALU_DEP_3)
	v_and_b32_e32 v28, 0xffff0000, v25
	v_lshlrev_b32_e32 v25, 16, v26
	v_and_b32_e32 v26, 0xffff0000, v26
	v_cndmask_b32_e64 v27, 0x7fc00000, v28, s23
	s_delay_alu instid0(VALU_DEP_1) | instskip(NEXT) | instid1(VALU_DEP_1)
	v_mul_f32_e32 v27, v27, v25
	v_bfe_u32 v28, v27, 16, 1
	v_cmp_o_f32_e64 s23, v27, v27
	s_delay_alu instid0(VALU_DEP_2) | instskip(NEXT) | instid1(VALU_DEP_1)
	v_add3_u32 v28, v27, v28, 0x7fff
	v_and_b32_e32 v28, 0xffff0000, v28
	s_delay_alu instid0(VALU_DEP_1) | instskip(NEXT) | instid1(VALU_DEP_1)
	v_cndmask_b32_e64 v27, 0x7fc00000, v28, s23
	v_mul_f32_e32 v27, v27, v26
	s_delay_alu instid0(VALU_DEP_1) | instskip(SKIP_1) | instid1(VALU_DEP_2)
	v_bfe_u32 v28, v27, 16, 1
	v_cmp_o_f32_e64 s23, v27, v27
	v_add3_u32 v28, v27, v28, 0x7fff
	s_delay_alu instid0(VALU_DEP_1) | instskip(NEXT) | instid1(VALU_DEP_1)
	v_lshrrev_b32_e32 v28, 16, v28
	v_cndmask_b32_e64 v27, 0x7fc0, v28, s23
	ds_store_b16 v29, v27
	s_waitcnt lgkmcnt(0)
	s_barrier
	buffer_gl0_inv
	v_cmpx_gt_u32_e32 32, v0
	s_cbranch_execz .LBB95_56
; %bb.45:
	v_lshrrev_b32_e32 v28, 3, v0
	s_mov_b32 s25, exec_lo
	s_delay_alu instid0(VALU_DEP_1) | instskip(NEXT) | instid1(VALU_DEP_1)
	v_and_b32_e32 v28, 6, v28
	v_lshl_or_b32 v28, v0, 2, v28
	ds_load_b32 v30, v28
	s_waitcnt lgkmcnt(0)
	v_and_b32_e32 v29, 0xffff0000, v30
	v_lshlrev_b32_e32 v30, 16, v30
	s_delay_alu instid0(VALU_DEP_1) | instskip(NEXT) | instid1(VALU_DEP_1)
	v_mul_f32_e32 v31, v30, v29
	v_bfe_u32 v32, v31, 16, 1
	v_cmp_o_f32_e64 s23, v31, v31
	s_delay_alu instid0(VALU_DEP_2) | instskip(SKIP_1) | instid1(VALU_DEP_2)
	v_add3_u32 v32, v31, v32, 0x7fff
	v_mbcnt_lo_u32_b32 v31, -1, 0
	v_lshrrev_b32_e32 v32, 16, v32
	s_delay_alu instid0(VALU_DEP_2) | instskip(NEXT) | instid1(VALU_DEP_2)
	v_and_b32_e32 v34, 15, v31
	v_cndmask_b32_e64 v32, 0x7fc0, v32, s23
	s_delay_alu instid0(VALU_DEP_1) | instskip(NEXT) | instid1(VALU_DEP_1)
	v_and_b32_e32 v33, 0xffff, v32
	v_mov_b32_dpp v35, v33 row_shr:1 row_mask:0xf bank_mask:0xf
	s_delay_alu instid0(VALU_DEP_4)
	v_cmpx_ne_u32_e32 0, v34
; %bb.46:
	s_delay_alu instid0(VALU_DEP_2) | instskip(SKIP_1) | instid1(VALU_DEP_1)
	v_lshlrev_b32_e32 v32, 16, v35
	v_lshlrev_b32_e32 v33, 16, v33
	v_mul_f32_e32 v32, v32, v33
	s_delay_alu instid0(VALU_DEP_1) | instskip(SKIP_1) | instid1(VALU_DEP_2)
	v_bfe_u32 v33, v32, 16, 1
	v_cmp_o_f32_e64 s23, v32, v32
	v_add3_u32 v33, v32, v33, 0x7fff
	s_delay_alu instid0(VALU_DEP_1) | instskip(NEXT) | instid1(VALU_DEP_1)
	v_lshrrev_b32_e32 v33, 16, v33
	v_cndmask_b32_e64 v32, 0x7fc0, v33, s23
	s_delay_alu instid0(VALU_DEP_1)
	v_and_b32_e32 v33, 0xffff, v32
; %bb.47:
	s_or_b32 exec_lo, exec_lo, s25
	s_delay_alu instid0(VALU_DEP_1)
	v_mov_b32_dpp v35, v33 row_shr:2 row_mask:0xf bank_mask:0xf
	s_mov_b32 s25, exec_lo
	v_cmpx_lt_u32_e32 1, v34
; %bb.48:
	s_delay_alu instid0(VALU_DEP_2) | instskip(SKIP_1) | instid1(VALU_DEP_1)
	v_lshlrev_b32_e32 v32, 16, v35
	v_lshlrev_b32_e32 v33, 16, v33
	v_mul_f32_e32 v32, v33, v32
	s_delay_alu instid0(VALU_DEP_1) | instskip(SKIP_1) | instid1(VALU_DEP_2)
	v_bfe_u32 v33, v32, 16, 1
	v_cmp_o_f32_e64 s23, v32, v32
	v_add3_u32 v33, v32, v33, 0x7fff
	s_delay_alu instid0(VALU_DEP_1) | instskip(NEXT) | instid1(VALU_DEP_1)
	v_lshrrev_b32_e32 v33, 16, v33
	v_cndmask_b32_e64 v32, 0x7fc0, v33, s23
	s_delay_alu instid0(VALU_DEP_1)
	v_and_b32_e32 v33, 0xffff, v32
; %bb.49:
	s_or_b32 exec_lo, exec_lo, s25
	s_delay_alu instid0(VALU_DEP_1)
	v_mov_b32_dpp v35, v33 row_shr:4 row_mask:0xf bank_mask:0xf
	s_mov_b32 s25, exec_lo
	v_cmpx_lt_u32_e32 3, v34
	;; [unrolled: 20-line block ×3, first 2 shown]
; %bb.52:
	s_delay_alu instid0(VALU_DEP_2) | instskip(SKIP_1) | instid1(VALU_DEP_1)
	v_lshlrev_b32_e32 v32, 16, v35
	v_lshlrev_b32_e32 v33, 16, v33
	v_mul_f32_e32 v32, v33, v32
	s_delay_alu instid0(VALU_DEP_1) | instskip(SKIP_1) | instid1(VALU_DEP_2)
	v_bfe_u32 v33, v32, 16, 1
	v_cmp_o_f32_e64 s23, v32, v32
	v_add3_u32 v33, v32, v33, 0x7fff
	s_delay_alu instid0(VALU_DEP_1) | instskip(NEXT) | instid1(VALU_DEP_1)
	v_lshrrev_b32_e32 v33, 16, v33
	v_cndmask_b32_e64 v32, 0x7fc0, v33, s23
	s_delay_alu instid0(VALU_DEP_1)
	v_and_b32_e32 v33, 0xffff, v32
; %bb.53:
	s_or_b32 exec_lo, exec_lo, s25
	ds_swizzle_b32 v34, v33 offset:swizzle(BROADCAST,32,15)
	v_and_b32_e32 v35, 16, v31
	s_mov_b32 s25, exec_lo
	s_delay_alu instid0(VALU_DEP_1)
	v_cmpx_ne_u32_e32 0, v35
	s_cbranch_execz .LBB95_55
; %bb.54:
	s_waitcnt lgkmcnt(0)
	v_lshlrev_b32_e32 v32, 16, v34
	v_lshlrev_b32_e32 v33, 16, v33
	s_delay_alu instid0(VALU_DEP_1) | instskip(NEXT) | instid1(VALU_DEP_1)
	v_mul_f32_e32 v32, v33, v32
	v_bfe_u32 v33, v32, 16, 1
	v_cmp_o_f32_e64 s23, v32, v32
	s_delay_alu instid0(VALU_DEP_2) | instskip(NEXT) | instid1(VALU_DEP_1)
	v_add3_u32 v33, v32, v33, 0x7fff
	v_lshrrev_b32_e32 v33, 16, v33
	s_delay_alu instid0(VALU_DEP_1)
	v_cndmask_b32_e64 v32, 0x7fc0, v33, s23
.LBB95_55:
	s_or_b32 exec_lo, exec_lo, s25
	v_add_nc_u32_e32 v33, -1, v31
	s_delay_alu instid0(VALU_DEP_2) | instskip(NEXT) | instid1(VALU_DEP_2)
	v_and_b32_e32 v32, 0xffff, v32
	v_cmp_gt_i32_e64 s23, 0, v33
	s_delay_alu instid0(VALU_DEP_1) | instskip(NEXT) | instid1(VALU_DEP_1)
	v_cndmask_b32_e64 v31, v33, v31, s23
	v_lshlrev_b32_e32 v31, 2, v31
	ds_bpermute_b32 v31, v31, v32
	s_waitcnt lgkmcnt(0)
	v_lshlrev_b32_e32 v31, 16, v31
	s_delay_alu instid0(VALU_DEP_1) | instskip(NEXT) | instid1(VALU_DEP_1)
	v_mul_f32_e32 v30, v30, v31
	v_bfe_u32 v31, v30, 16, 1
	v_cmp_o_f32_e64 s23, v30, v30
	s_delay_alu instid0(VALU_DEP_2) | instskip(NEXT) | instid1(VALU_DEP_1)
	v_add3_u32 v31, v30, v31, 0x7fff
	v_lshrrev_b32_e32 v31, 16, v31
	s_delay_alu instid0(VALU_DEP_1) | instskip(SKIP_1) | instid1(VALU_DEP_1)
	v_cndmask_b32_e64 v30, 0x7fc0, v31, s23
	v_cmp_eq_u32_e64 s23, 0, v0
	v_cndmask_b32_e64 v30, v30, v27, s23
	s_delay_alu instid0(VALU_DEP_1) | instskip(NEXT) | instid1(VALU_DEP_1)
	v_lshlrev_b32_e32 v31, 16, v30
	v_mul_f32_e32 v29, v29, v31
	s_delay_alu instid0(VALU_DEP_1) | instskip(SKIP_1) | instid1(VALU_DEP_2)
	v_bfe_u32 v31, v29, 16, 1
	v_cmp_o_f32_e64 s23, v29, v29
	v_add3_u32 v31, v29, v31, 0x7fff
	s_delay_alu instid0(VALU_DEP_1) | instskip(NEXT) | instid1(VALU_DEP_1)
	v_lshrrev_b32_e32 v31, 16, v31
	v_cndmask_b32_e64 v29, 0x7fc0, v31, s23
	ds_store_b16 v28, v30
	ds_store_b16 v28, v29 offset:2
.LBB95_56:
	s_or_b32 exec_lo, exec_lo, s24
	v_mul_u32_u24_e32 v28, 42, v0
	v_cmp_ne_u32_e64 s23, 0, v0
	s_waitcnt lgkmcnt(0)
	s_barrier
	buffer_gl0_inv
	s_and_saveexec_b32 s24, s23
	s_cbranch_execz .LBB95_58
; %bb.57:
	v_add_nc_u32_e32 v0, -1, v0
	s_delay_alu instid0(VALU_DEP_1) | instskip(NEXT) | instid1(VALU_DEP_1)
	v_lshrrev_b32_e32 v27, 5, v0
	v_add_lshl_u32 v0, v27, v0, 1
	ds_load_u16 v27, v0
.LBB95_58:
	s_or_b32 exec_lo, exec_lo, s24
	s_and_saveexec_b32 s24, s23
	s_cbranch_execz .LBB95_60
; %bb.59:
	s_waitcnt lgkmcnt(0)
	v_lshlrev_b32_e32 v0, 16, v27
	s_delay_alu instid0(VALU_DEP_1) | instskip(NEXT) | instid1(VALU_DEP_1)
	v_mul_f32_e32 v0, v14, v0
	v_bfe_u32 v1, v0, 16, 1
	v_cmp_o_f32_e64 s23, v0, v0
	s_delay_alu instid0(VALU_DEP_2) | instskip(NEXT) | instid1(VALU_DEP_1)
	v_add3_u32 v1, v0, v1, 0x7fff
	v_lshrrev_b32_e32 v1, 16, v1
	s_delay_alu instid0(VALU_DEP_1) | instskip(NEXT) | instid1(VALU_DEP_1)
	v_cndmask_b32_e64 v1, 0x7fc0, v1, s23
	v_lshlrev_b32_e32 v0, 16, v1
	s_delay_alu instid0(VALU_DEP_1) | instskip(NEXT) | instid1(VALU_DEP_1)
	v_mul_f32_e32 v7, v8, v0
	v_bfe_u32 v0, v7, 16, 1
	s_delay_alu instid0(VALU_DEP_1)
	v_add3_u32 v11, v7, v0, 0x7fff
.LBB95_60:
	s_or_b32 exec_lo, exec_lo, s24
	s_delay_alu instid0(VALU_DEP_1)
	v_lshrrev_b32_e32 v0, 16, v11
	v_cmp_o_f32_e64 s23, v7, v7
	s_load_b64 s[24:25], s[0:1], 0x18
	s_waitcnt lgkmcnt(0)
	s_barrier
	buffer_gl0_inv
	v_cndmask_b32_e64 v0, 0x7fc0, v0, s23
	s_delay_alu instid0(VALU_DEP_1) | instskip(SKIP_1) | instid1(VALU_DEP_2)
	v_lshlrev_b32_e32 v7, 16, v0
	v_perm_b32 v0, v0, v1, 0x5040100
	v_mul_f32_e32 v4, v4, v7
	s_delay_alu instid0(VALU_DEP_1) | instskip(SKIP_1) | instid1(VALU_DEP_2)
	v_bfe_u32 v7, v4, 16, 1
	v_cmp_o_f32_e64 s23, v4, v4
	v_add3_u32 v7, v4, v7, 0x7fff
	s_delay_alu instid0(VALU_DEP_1) | instskip(NEXT) | instid1(VALU_DEP_1)
	v_lshrrev_b32_e32 v7, 16, v7
	v_cndmask_b32_e64 v4, 0x7fc0, v7, s23
	s_delay_alu instid0(VALU_DEP_1) | instskip(NEXT) | instid1(VALU_DEP_1)
	v_lshlrev_b32_e32 v7, 16, v4
	v_mul_f32_e32 v2, v2, v7
	s_delay_alu instid0(VALU_DEP_1) | instskip(SKIP_1) | instid1(VALU_DEP_2)
	v_bfe_u32 v7, v2, 16, 1
	v_cmp_o_f32_e64 s23, v2, v2
	v_add3_u32 v7, v2, v7, 0x7fff
	s_delay_alu instid0(VALU_DEP_1) | instskip(NEXT) | instid1(VALU_DEP_1)
	v_lshrrev_b32_e32 v7, 16, v7
	v_cndmask_b32_e64 v2, 0x7fc0, v7, s23
	s_delay_alu instid0(VALU_DEP_1) | instskip(SKIP_1) | instid1(VALU_DEP_2)
	v_lshlrev_b32_e32 v7, 16, v2
	v_perm_b32 v1, v2, v4, 0x5040100
	v_mul_f32_e32 v5, v5, v7
	s_delay_alu instid0(VALU_DEP_1) | instskip(SKIP_1) | instid1(VALU_DEP_2)
	v_bfe_u32 v7, v5, 16, 1
	v_cmp_o_f32_e64 s23, v5, v5
	v_add3_u32 v7, v5, v7, 0x7fff
	s_delay_alu instid0(VALU_DEP_1) | instskip(NEXT) | instid1(VALU_DEP_1)
	v_lshrrev_b32_e32 v7, 16, v7
	v_cndmask_b32_e64 v5, 0x7fc0, v7, s23
	s_delay_alu instid0(VALU_DEP_1) | instskip(NEXT) | instid1(VALU_DEP_1)
	v_lshlrev_b32_e32 v7, 16, v5
	v_mul_f32_e32 v6, v6, v7
	s_delay_alu instid0(VALU_DEP_1) | instskip(SKIP_1) | instid1(VALU_DEP_2)
	v_bfe_u32 v7, v6, 16, 1
	v_cmp_o_f32_e64 s23, v6, v6
	v_add3_u32 v7, v6, v7, 0x7fff
	s_delay_alu instid0(VALU_DEP_1) | instskip(NEXT) | instid1(VALU_DEP_1)
	v_lshrrev_b32_e32 v7, 16, v7
	;; [unrolled: 21-line block ×8, first 2 shown]
	v_cndmask_b32_e64 v18, 0x7fc0, v19, s23
	s_delay_alu instid0(VALU_DEP_1) | instskip(SKIP_1) | instid1(VALU_DEP_2)
	v_lshlrev_b32_e32 v19, 16, v18
	v_perm_b32 v10, v18, v17, 0x5040100
	v_mul_f32_e32 v19, v23, v19
	s_delay_alu instid0(VALU_DEP_1) | instskip(SKIP_1) | instid1(VALU_DEP_2)
	v_bfe_u32 v20, v19, 16, 1
	v_cmp_o_f32_e64 s23, v19, v19
	v_add3_u32 v20, v19, v20, 0x7fff
	s_delay_alu instid0(VALU_DEP_1) | instskip(NEXT) | instid1(VALU_DEP_1)
	v_lshrrev_b32_e32 v20, 16, v20
	v_cndmask_b32_e64 v19, 0x7fc0, v20, s23
	s_delay_alu instid0(VALU_DEP_1) | instskip(NEXT) | instid1(VALU_DEP_1)
	v_lshlrev_b32_e32 v20, 16, v19
	v_mul_f32_e32 v20, v24, v20
	v_add_nc_u32_e32 v24, v3, v28
	s_delay_alu instid0(VALU_DEP_2) | instskip(SKIP_1) | instid1(VALU_DEP_2)
	v_bfe_u32 v21, v20, 16, 1
	v_cmp_o_f32_e64 s23, v20, v20
	v_add3_u32 v21, v20, v21, 0x7fff
	s_delay_alu instid0(VALU_DEP_1) | instskip(NEXT) | instid1(VALU_DEP_1)
	v_lshrrev_b32_e32 v21, 16, v21
	v_cndmask_b32_e64 v20, 0x7fc0, v21, s23
	s_delay_alu instid0(VALU_DEP_1) | instskip(SKIP_1) | instid1(VALU_DEP_2)
	v_lshlrev_b32_e32 v21, 16, v20
	v_perm_b32 v11, v20, v19, 0x5040100
	v_mul_f32_e32 v21, v25, v21
	s_delay_alu instid0(VALU_DEP_1) | instskip(SKIP_1) | instid1(VALU_DEP_2)
	v_bfe_u32 v22, v21, 16, 1
	v_cmp_o_f32_e64 s23, v21, v21
	v_add3_u32 v22, v21, v22, 0x7fff
	s_delay_alu instid0(VALU_DEP_1) | instskip(NEXT) | instid1(VALU_DEP_1)
	v_lshrrev_b32_e32 v22, 16, v22
	v_cndmask_b32_e64 v21, 0x7fc0, v22, s23
	s_delay_alu instid0(VALU_DEP_1) | instskip(NEXT) | instid1(VALU_DEP_1)
	v_lshlrev_b32_e32 v22, 16, v21
	v_mul_f32_e32 v22, v26, v22
	s_delay_alu instid0(VALU_DEP_1) | instskip(SKIP_1) | instid1(VALU_DEP_2)
	v_bfe_u32 v23, v22, 16, 1
	v_cmp_o_f32_e64 s0, v22, v22
	v_add3_u32 v23, v22, v23, 0x7fff
	s_delay_alu instid0(VALU_DEP_1) | instskip(NEXT) | instid1(VALU_DEP_1)
	v_lshrrev_b32_e32 v4, 16, v23
	v_cndmask_b32_e64 v4, 0x7fc0, v4, s0
	s_delay_alu instid0(VALU_DEP_1)
	v_perm_b32 v4, v4, v21, 0x5040100
	ds_store_2addr_b32 v24, v0, v1 offset1:1
	ds_store_2addr_b32 v24, v2, v5 offset0:2 offset1:3
	ds_store_2addr_b32 v24, v6, v7 offset0:4 offset1:5
	;; [unrolled: 1-line block ×4, first 2 shown]
	ds_store_b32 v24, v4 offset:40
	s_waitcnt lgkmcnt(0)
	s_barrier
	buffer_gl0_inv
	ds_load_u16 v23, v3 offset:128
	ds_load_u16 v22, v3 offset:256
	;; [unrolled: 1-line block ×21, first 2 shown]
	v_add_co_u32 v0, s0, s24, v3
	s_delay_alu instid0(VALU_DEP_1)
	v_add_co_ci_u32_e64 v1, null, s25, 0, s0
	s_and_saveexec_b32 s0, vcc_lo
	s_cbranch_execnz .LBB95_83
; %bb.61:
	s_or_b32 exec_lo, exec_lo, s0
	s_and_saveexec_b32 s0, s2
	s_cbranch_execnz .LBB95_84
.LBB95_62:
	s_or_b32 exec_lo, exec_lo, s0
	s_and_saveexec_b32 s0, s3
	s_cbranch_execnz .LBB95_85
.LBB95_63:
	s_or_b32 exec_lo, exec_lo, s0
	s_and_saveexec_b32 s0, s4
	s_cbranch_execnz .LBB95_86
.LBB95_64:
	s_or_b32 exec_lo, exec_lo, s0
	s_and_saveexec_b32 s0, s5
	s_cbranch_execnz .LBB95_87
.LBB95_65:
	s_or_b32 exec_lo, exec_lo, s0
	s_and_saveexec_b32 s0, s6
	s_cbranch_execnz .LBB95_88
.LBB95_66:
	s_or_b32 exec_lo, exec_lo, s0
	s_and_saveexec_b32 s0, s7
	s_cbranch_execnz .LBB95_89
.LBB95_67:
	s_or_b32 exec_lo, exec_lo, s0
	s_and_saveexec_b32 s0, s8
	s_cbranch_execnz .LBB95_90
.LBB95_68:
	s_or_b32 exec_lo, exec_lo, s0
	s_and_saveexec_b32 s0, s9
	s_cbranch_execnz .LBB95_91
.LBB95_69:
	s_or_b32 exec_lo, exec_lo, s0
	s_and_saveexec_b32 s0, s10
	s_cbranch_execnz .LBB95_92
.LBB95_70:
	s_or_b32 exec_lo, exec_lo, s0
	s_and_saveexec_b32 s0, s11
	s_cbranch_execnz .LBB95_93
.LBB95_71:
	s_or_b32 exec_lo, exec_lo, s0
	s_and_saveexec_b32 s0, s12
	s_cbranch_execnz .LBB95_94
.LBB95_72:
	s_or_b32 exec_lo, exec_lo, s0
	s_and_saveexec_b32 s0, s13
	s_cbranch_execnz .LBB95_95
.LBB95_73:
	s_or_b32 exec_lo, exec_lo, s0
	s_and_saveexec_b32 s0, s14
	s_cbranch_execnz .LBB95_96
.LBB95_74:
	s_or_b32 exec_lo, exec_lo, s0
	s_and_saveexec_b32 s0, s15
	s_cbranch_execnz .LBB95_97
.LBB95_75:
	s_or_b32 exec_lo, exec_lo, s0
	s_and_saveexec_b32 s0, s16
	s_cbranch_execnz .LBB95_98
.LBB95_76:
	s_or_b32 exec_lo, exec_lo, s0
	s_and_saveexec_b32 s0, s17
	s_cbranch_execnz .LBB95_99
.LBB95_77:
	s_or_b32 exec_lo, exec_lo, s0
	s_and_saveexec_b32 s0, s18
	s_cbranch_execnz .LBB95_100
.LBB95_78:
	s_or_b32 exec_lo, exec_lo, s0
	s_and_saveexec_b32 s0, s19
	s_cbranch_execnz .LBB95_101
.LBB95_79:
	s_or_b32 exec_lo, exec_lo, s0
	s_and_saveexec_b32 s0, s20
	s_cbranch_execnz .LBB95_102
.LBB95_80:
	s_or_b32 exec_lo, exec_lo, s0
	s_and_saveexec_b32 s0, s21
	s_cbranch_execnz .LBB95_103
.LBB95_81:
	s_or_b32 exec_lo, exec_lo, s0
	s_and_saveexec_b32 s0, s22
	s_cbranch_execnz .LBB95_104
.LBB95_82:
	s_nop 0
	s_sendmsg sendmsg(MSG_DEALLOC_VGPRS)
	s_endpgm
.LBB95_83:
	ds_load_u16 v3, v3
	s_waitcnt lgkmcnt(0)
	global_store_b16 v[0:1], v3, off
	s_or_b32 exec_lo, exec_lo, s0
	s_and_saveexec_b32 s0, s2
	s_cbranch_execz .LBB95_62
.LBB95_84:
	s_waitcnt lgkmcnt(20)
	global_store_b16 v[0:1], v23, off offset:128
	s_or_b32 exec_lo, exec_lo, s0
	s_and_saveexec_b32 s0, s3
	s_cbranch_execz .LBB95_63
.LBB95_85:
	s_waitcnt lgkmcnt(19)
	global_store_b16 v[0:1], v22, off offset:256
	s_or_b32 exec_lo, exec_lo, s0
	s_and_saveexec_b32 s0, s4
	s_cbranch_execz .LBB95_64
.LBB95_86:
	s_waitcnt lgkmcnt(18)
	global_store_b16 v[0:1], v21, off offset:384
	s_or_b32 exec_lo, exec_lo, s0
	s_and_saveexec_b32 s0, s5
	s_cbranch_execz .LBB95_65
.LBB95_87:
	s_waitcnt lgkmcnt(17)
	global_store_b16 v[0:1], v20, off offset:512
	s_or_b32 exec_lo, exec_lo, s0
	s_and_saveexec_b32 s0, s6
	s_cbranch_execz .LBB95_66
.LBB95_88:
	s_waitcnt lgkmcnt(16)
	global_store_b16 v[0:1], v19, off offset:640
	s_or_b32 exec_lo, exec_lo, s0
	s_and_saveexec_b32 s0, s7
	s_cbranch_execz .LBB95_67
.LBB95_89:
	s_waitcnt lgkmcnt(15)
	global_store_b16 v[0:1], v18, off offset:768
	s_or_b32 exec_lo, exec_lo, s0
	s_and_saveexec_b32 s0, s8
	s_cbranch_execz .LBB95_68
.LBB95_90:
	s_waitcnt lgkmcnt(14)
	global_store_b16 v[0:1], v17, off offset:896
	s_or_b32 exec_lo, exec_lo, s0
	s_and_saveexec_b32 s0, s9
	s_cbranch_execz .LBB95_69
.LBB95_91:
	s_waitcnt lgkmcnt(13)
	global_store_b16 v[0:1], v16, off offset:1024
	s_or_b32 exec_lo, exec_lo, s0
	s_and_saveexec_b32 s0, s10
	s_cbranch_execz .LBB95_70
.LBB95_92:
	s_waitcnt lgkmcnt(12)
	global_store_b16 v[0:1], v15, off offset:1152
	s_or_b32 exec_lo, exec_lo, s0
	s_and_saveexec_b32 s0, s11
	s_cbranch_execz .LBB95_71
.LBB95_93:
	s_waitcnt lgkmcnt(11)
	global_store_b16 v[0:1], v14, off offset:1280
	s_or_b32 exec_lo, exec_lo, s0
	s_and_saveexec_b32 s0, s12
	s_cbranch_execz .LBB95_72
.LBB95_94:
	s_waitcnt lgkmcnt(10)
	global_store_b16 v[0:1], v13, off offset:1408
	s_or_b32 exec_lo, exec_lo, s0
	s_and_saveexec_b32 s0, s13
	s_cbranch_execz .LBB95_73
.LBB95_95:
	s_waitcnt lgkmcnt(9)
	global_store_b16 v[0:1], v12, off offset:1536
	s_or_b32 exec_lo, exec_lo, s0
	s_and_saveexec_b32 s0, s14
	s_cbranch_execz .LBB95_74
.LBB95_96:
	s_waitcnt lgkmcnt(8)
	global_store_b16 v[0:1], v11, off offset:1664
	s_or_b32 exec_lo, exec_lo, s0
	s_and_saveexec_b32 s0, s15
	s_cbranch_execz .LBB95_75
.LBB95_97:
	s_waitcnt lgkmcnt(7)
	global_store_b16 v[0:1], v10, off offset:1792
	s_or_b32 exec_lo, exec_lo, s0
	s_and_saveexec_b32 s0, s16
	s_cbranch_execz .LBB95_76
.LBB95_98:
	s_waitcnt lgkmcnt(6)
	global_store_b16 v[0:1], v9, off offset:1920
	s_or_b32 exec_lo, exec_lo, s0
	s_and_saveexec_b32 s0, s17
	s_cbranch_execz .LBB95_77
.LBB95_99:
	s_waitcnt lgkmcnt(5)
	global_store_b16 v[0:1], v8, off offset:2048
	s_or_b32 exec_lo, exec_lo, s0
	s_and_saveexec_b32 s0, s18
	s_cbranch_execz .LBB95_78
.LBB95_100:
	s_waitcnt lgkmcnt(4)
	global_store_b16 v[0:1], v7, off offset:2176
	s_or_b32 exec_lo, exec_lo, s0
	s_and_saveexec_b32 s0, s19
	s_cbranch_execz .LBB95_79
.LBB95_101:
	s_waitcnt lgkmcnt(3)
	global_store_b16 v[0:1], v6, off offset:2304
	s_or_b32 exec_lo, exec_lo, s0
	s_and_saveexec_b32 s0, s20
	s_cbranch_execz .LBB95_80
.LBB95_102:
	s_waitcnt lgkmcnt(2)
	global_store_b16 v[0:1], v5, off offset:2432
	s_or_b32 exec_lo, exec_lo, s0
	s_and_saveexec_b32 s0, s21
	s_cbranch_execz .LBB95_81
.LBB95_103:
	s_waitcnt lgkmcnt(1)
	global_store_b16 v[0:1], v4, off offset:2560
	s_or_b32 exec_lo, exec_lo, s0
	s_and_saveexec_b32 s0, s22
	s_cbranch_execz .LBB95_82
.LBB95_104:
	s_waitcnt lgkmcnt(0)
	global_store_b16 v[0:1], v2, off offset:2688
	s_nop 0
	s_sendmsg sendmsg(MSG_DEALLOC_VGPRS)
	s_endpgm
	.section	.rodata,"a",@progbits
	.p2align	6, 0x0
	.amdhsa_kernel _ZN7rocprim17ROCPRIM_304000_NS6detail18single_scan_kernelILb0ENS1_19wrapped_scan_configINS0_14default_configEN3c108BFloat16EEEPKS6_PS6_St10multipliesIS6_ES6_S6_EEvT1_mT4_T2_T3_
		.amdhsa_group_segment_fixed_size 2816
		.amdhsa_private_segment_fixed_size 0
		.amdhsa_kernarg_size 36
		.amdhsa_user_sgpr_count 15
		.amdhsa_user_sgpr_dispatch_ptr 0
		.amdhsa_user_sgpr_queue_ptr 0
		.amdhsa_user_sgpr_kernarg_segment_ptr 1
		.amdhsa_user_sgpr_dispatch_id 0
		.amdhsa_user_sgpr_private_segment_size 0
		.amdhsa_wavefront_size32 1
		.amdhsa_uses_dynamic_stack 0
		.amdhsa_enable_private_segment 0
		.amdhsa_system_sgpr_workgroup_id_x 1
		.amdhsa_system_sgpr_workgroup_id_y 0
		.amdhsa_system_sgpr_workgroup_id_z 0
		.amdhsa_system_sgpr_workgroup_info 0
		.amdhsa_system_vgpr_workitem_id 0
		.amdhsa_next_free_vgpr 36
		.amdhsa_next_free_sgpr 26
		.amdhsa_reserve_vcc 1
		.amdhsa_float_round_mode_32 0
		.amdhsa_float_round_mode_16_64 0
		.amdhsa_float_denorm_mode_32 3
		.amdhsa_float_denorm_mode_16_64 3
		.amdhsa_dx10_clamp 1
		.amdhsa_ieee_mode 1
		.amdhsa_fp16_overflow 0
		.amdhsa_workgroup_processor_mode 1
		.amdhsa_memory_ordered 1
		.amdhsa_forward_progress 0
		.amdhsa_shared_vgpr_count 0
		.amdhsa_exception_fp_ieee_invalid_op 0
		.amdhsa_exception_fp_denorm_src 0
		.amdhsa_exception_fp_ieee_div_zero 0
		.amdhsa_exception_fp_ieee_overflow 0
		.amdhsa_exception_fp_ieee_underflow 0
		.amdhsa_exception_fp_ieee_inexact 0
		.amdhsa_exception_int_div_zero 0
	.end_amdhsa_kernel
	.section	.text._ZN7rocprim17ROCPRIM_304000_NS6detail18single_scan_kernelILb0ENS1_19wrapped_scan_configINS0_14default_configEN3c108BFloat16EEEPKS6_PS6_St10multipliesIS6_ES6_S6_EEvT1_mT4_T2_T3_,"axG",@progbits,_ZN7rocprim17ROCPRIM_304000_NS6detail18single_scan_kernelILb0ENS1_19wrapped_scan_configINS0_14default_configEN3c108BFloat16EEEPKS6_PS6_St10multipliesIS6_ES6_S6_EEvT1_mT4_T2_T3_,comdat
.Lfunc_end95:
	.size	_ZN7rocprim17ROCPRIM_304000_NS6detail18single_scan_kernelILb0ENS1_19wrapped_scan_configINS0_14default_configEN3c108BFloat16EEEPKS6_PS6_St10multipliesIS6_ES6_S6_EEvT1_mT4_T2_T3_, .Lfunc_end95-_ZN7rocprim17ROCPRIM_304000_NS6detail18single_scan_kernelILb0ENS1_19wrapped_scan_configINS0_14default_configEN3c108BFloat16EEEPKS6_PS6_St10multipliesIS6_ES6_S6_EEvT1_mT4_T2_T3_
                                        ; -- End function
	.section	.AMDGPU.csdata,"",@progbits
; Kernel info:
; codeLenInByte = 6324
; NumSgprs: 28
; NumVgprs: 36
; ScratchSize: 0
; MemoryBound: 0
; FloatMode: 240
; IeeeMode: 1
; LDSByteSize: 2816 bytes/workgroup (compile time only)
; SGPRBlocks: 3
; VGPRBlocks: 4
; NumSGPRsForWavesPerEU: 28
; NumVGPRsForWavesPerEU: 36
; Occupancy: 16
; WaveLimiterHint : 0
; COMPUTE_PGM_RSRC2:SCRATCH_EN: 0
; COMPUTE_PGM_RSRC2:USER_SGPR: 15
; COMPUTE_PGM_RSRC2:TRAP_HANDLER: 0
; COMPUTE_PGM_RSRC2:TGID_X_EN: 1
; COMPUTE_PGM_RSRC2:TGID_Y_EN: 0
; COMPUTE_PGM_RSRC2:TGID_Z_EN: 0
; COMPUTE_PGM_RSRC2:TIDIG_COMP_CNT: 0
	.section	.text._ZN2at6native32tensor_kernel_scan_innermost_dimIN3c108BFloat16ESt10multipliesIS3_EEEvPT_PKS6_jjjS6_T0_,"axG",@progbits,_ZN2at6native32tensor_kernel_scan_innermost_dimIN3c108BFloat16ESt10multipliesIS3_EEEvPT_PKS6_jjjS6_T0_,comdat
	.protected	_ZN2at6native32tensor_kernel_scan_innermost_dimIN3c108BFloat16ESt10multipliesIS3_EEEvPT_PKS6_jjjS6_T0_ ; -- Begin function _ZN2at6native32tensor_kernel_scan_innermost_dimIN3c108BFloat16ESt10multipliesIS3_EEEvPT_PKS6_jjjS6_T0_
	.globl	_ZN2at6native32tensor_kernel_scan_innermost_dimIN3c108BFloat16ESt10multipliesIS3_EEEvPT_PKS6_jjjS6_T0_
	.p2align	8
	.type	_ZN2at6native32tensor_kernel_scan_innermost_dimIN3c108BFloat16ESt10multipliesIS3_EEEvPT_PKS6_jjjS6_T0_,@function
_ZN2at6native32tensor_kernel_scan_innermost_dimIN3c108BFloat16ESt10multipliesIS3_EEEvPT_PKS6_jjjS6_T0_: ; @_ZN2at6native32tensor_kernel_scan_innermost_dimIN3c108BFloat16ESt10multipliesIS3_EEEvPT_PKS6_jjjS6_T0_
; %bb.0:
	s_load_b256 s[16:23], s[0:1], 0x0
	v_bfe_u32 v9, v0, 10, 10
	s_waitcnt lgkmcnt(0)
	s_lshl_b32 s5, 2, s22
	s_mul_hi_u32 s2, s20, s21
	s_delay_alu instid0(VALU_DEP_1) | instskip(SKIP_3) | instid1(VALU_DEP_1)
	v_mul_lo_u32 v1, s5, v9
	s_mov_b32 s6, s20
	s_cmp_lg_u32 s2, 0
	s_mov_b32 s2, -1
	v_lshl_add_u32 v10, v1, 1, 0
	s_cbranch_scc1 .LBB96_26
; %bb.1:
	s_load_b32 s4, s[0:1], 0x2c
	s_add_u32 s2, s0, 32
	s_addc_u32 s3, s1, 0
	s_waitcnt lgkmcnt(0)
	s_lshr_b32 s4, s4, 16
	s_delay_alu instid0(SALU_CYCLE_1) | instskip(NEXT) | instid1(SALU_CYCLE_1)
	s_mul_i32 s7, s15, s4
	s_cmp_ge_u32 s7, s20
	s_cbranch_scc1 .LBB96_25
; %bb.2:
	s_load_b32 s10, s[2:3], 0x0
	v_dual_mov_b32 v2, 0 :: v_dual_and_b32 v5, 0x3ff, v0
	v_add_nc_u32_e32 v6, -2, v10
	s_lshl_b32 s8, 1, s22
	s_cmp_lg_u32 s21, 0
	s_delay_alu instid0(VALU_DEP_2)
	v_lshl_add_u32 v7, v5, 1, v10
	v_cmp_eq_u32_e64 s2, 0, v5
	v_lshl_add_u32 v8, s5, 1, v6
	s_cselect_b32 s9, -1, 0
	s_add_i32 s11, s22, 1
	v_lshl_add_u32 v11, s8, 1, v7
	s_waitcnt lgkmcnt(0)
	s_mul_i32 s10, s10, s4
	s_branch .LBB96_4
.LBB96_3:                               ;   in Loop: Header=BB96_4 Depth=1
	s_add_i32 s7, s7, s10
	s_delay_alu instid0(SALU_CYCLE_1)
	s_cmp_ge_u32 s7, s20
	s_cbranch_scc1 .LBB96_25
.LBB96_4:                               ; =>This Loop Header: Depth=1
                                        ;     Child Loop BB96_7 Depth 2
                                        ;       Child Loop BB96_16 Depth 3
	s_and_not1_b32 vcc_lo, exec_lo, s9
	s_cbranch_vccnz .LBB96_3
; %bb.5:                                ;   in Loop: Header=BB96_4 Depth=1
	v_add_nc_u32_e32 v12, s7, v9
	v_mov_b32_e32 v16, s23
	s_mov_b32 s12, 0
	s_delay_alu instid0(VALU_DEP_2) | instskip(SKIP_2) | instid1(VALU_DEP_3)
	v_mul_lo_u32 v1, v12, s21
	v_cmp_gt_u32_e32 vcc_lo, s20, v12
	v_cmp_le_u32_e64 s3, s20, v12
	v_lshlrev_b64 v[3:4], 1, v[1:2]
	s_delay_alu instid0(VALU_DEP_1) | instskip(NEXT) | instid1(VALU_DEP_1)
	v_add_co_u32 v12, s4, s18, v3
	v_add_co_ci_u32_e64 v13, s4, s19, v4, s4
	v_add_co_u32 v14, s4, s16, v3
	s_delay_alu instid0(VALU_DEP_1)
	v_add_co_ci_u32_e64 v15, s4, s17, v4, s4
	s_branch .LBB96_7
.LBB96_6:                               ;   in Loop: Header=BB96_7 Depth=2
	s_or_b32 exec_lo, exec_lo, s13
	ds_load_u16 v16, v8
	s_add_i32 s12, s12, s5
	s_waitcnt lgkmcnt(0)
	s_waitcnt_vscnt null, 0x0
	s_cmp_ge_u32 s12, s21
	s_barrier
	buffer_gl0_inv
	s_cbranch_scc1 .LBB96_3
.LBB96_7:                               ;   Parent Loop BB96_4 Depth=1
                                        ; =>  This Loop Header: Depth=2
                                        ;       Child Loop BB96_16 Depth 3
	v_add_nc_u32_e32 v1, s12, v5
	s_delay_alu instid0(VALU_DEP_1)
	v_add_nc_u32_e32 v3, s8, v1
	s_and_saveexec_b32 s13, vcc_lo
	s_cbranch_execz .LBB96_14
; %bb.8:                                ;   in Loop: Header=BB96_7 Depth=2
	v_mov_b32_e32 v4, s23
	s_mov_b32 s14, exec_lo
	v_cmpx_gt_u32_e64 s21, v1
	s_cbranch_execz .LBB96_10
; %bb.9:                                ;   in Loop: Header=BB96_7 Depth=2
	v_lshlrev_b64 v[17:18], 1, v[1:2]
	s_delay_alu instid0(VALU_DEP_1) | instskip(NEXT) | instid1(VALU_DEP_1)
	v_add_co_u32 v17, s4, v12, v17
	v_add_co_ci_u32_e64 v18, s4, v13, v18, s4
	global_load_u16 v4, v[17:18], off
.LBB96_10:                              ;   in Loop: Header=BB96_7 Depth=2
	s_or_b32 exec_lo, exec_lo, s14
	v_mov_b32_e32 v17, s23
	s_mov_b32 s14, exec_lo
	s_waitcnt vmcnt(0)
	ds_store_b16 v7, v4
	v_cmpx_gt_u32_e64 s21, v3
	s_cbranch_execz .LBB96_12
; %bb.11:                               ;   in Loop: Header=BB96_7 Depth=2
	v_mov_b32_e32 v4, v2
	s_delay_alu instid0(VALU_DEP_1) | instskip(NEXT) | instid1(VALU_DEP_1)
	v_lshlrev_b64 v[17:18], 1, v[3:4]
	v_add_co_u32 v17, s4, v12, v17
	s_delay_alu instid0(VALU_DEP_1)
	v_add_co_ci_u32_e64 v18, s4, v13, v18, s4
	global_load_u16 v17, v[17:18], off
.LBB96_12:                              ;   in Loop: Header=BB96_7 Depth=2
	s_or_b32 exec_lo, exec_lo, s14
	s_waitcnt vmcnt(0)
	ds_store_b16 v11, v17
	s_and_b32 exec_lo, exec_lo, s2
	s_cbranch_execz .LBB96_14
; %bb.13:                               ;   in Loop: Header=BB96_7 Depth=2
	ds_load_u16 v4, v10
	v_lshlrev_b32_e32 v16, 16, v16
	s_waitcnt lgkmcnt(0)
	v_lshlrev_b32_e32 v4, 16, v4
	s_delay_alu instid0(VALU_DEP_1) | instskip(NEXT) | instid1(VALU_DEP_1)
	v_mul_f32_e32 v4, v16, v4
	v_bfe_u32 v16, v4, 16, 1
	v_cmp_o_f32_e64 s4, v4, v4
	s_delay_alu instid0(VALU_DEP_2) | instskip(NEXT) | instid1(VALU_DEP_1)
	v_add3_u32 v16, v4, v16, 0x7fff
	v_lshrrev_b32_e32 v16, 16, v16
	s_delay_alu instid0(VALU_DEP_1)
	v_cndmask_b32_e64 v4, 0x7fc0, v16, s4
	ds_store_b16 v10, v4
.LBB96_14:                              ;   in Loop: Header=BB96_7 Depth=2
	s_or_b32 exec_lo, exec_lo, s13
	v_mov_b32_e32 v4, 0
	s_mov_b32 s13, 0
	s_waitcnt lgkmcnt(0)
	s_barrier
	buffer_gl0_inv
	s_branch .LBB96_16
.LBB96_15:                              ;   in Loop: Header=BB96_16 Depth=3
	s_or_b32 exec_lo, exec_lo, s14
	s_delay_alu instid0(VALU_DEP_1) | instskip(SKIP_4) | instid1(SALU_CYCLE_1)
	v_cmp_eq_u32_e64 s4, s11, v4
	s_waitcnt lgkmcnt(0)
	s_barrier
	buffer_gl0_inv
	s_or_b32 s13, s4, s13
	s_and_not1_b32 exec_lo, exec_lo, s13
	s_cbranch_execz .LBB96_20
.LBB96_16:                              ;   Parent Loop BB96_4 Depth=1
                                        ;     Parent Loop BB96_7 Depth=2
                                        ; =>    This Inner Loop Header: Depth=3
	v_add_nc_u32_e32 v16, 1, v4
	s_and_saveexec_b32 s4, s3
	s_delay_alu instid0(SALU_CYCLE_1)
	s_xor_b32 s4, exec_lo, s4
; %bb.17:                               ;   in Loop: Header=BB96_16 Depth=3
	v_add_nc_u32_e32 v4, 1, v4
                                        ; implicit-def: $vgpr16
; %bb.18:                               ;   in Loop: Header=BB96_16 Depth=3
	s_and_not1_saveexec_b32 s14, s4
	s_cbranch_execz .LBB96_15
; %bb.19:                               ;   in Loop: Header=BB96_16 Depth=3
	s_delay_alu instid0(VALU_DEP_1) | instskip(SKIP_2) | instid1(VALU_DEP_2)
	v_lshlrev_b32_e64 v17, v4, 1
	v_lshrrev_b32_e32 v18, v4, v5
	v_bfm_b32 v4, v4, 0
	v_lshl_or_b32 v17, v18, v16, v17
	s_delay_alu instid0(VALU_DEP_2) | instskip(NEXT) | instid1(VALU_DEP_2)
	v_and_b32_e32 v4, v4, v5
	v_lshlrev_b32_e32 v17, 1, v17
	s_delay_alu instid0(VALU_DEP_2) | instskip(NEXT) | instid1(VALU_DEP_2)
	v_lshlrev_b32_e32 v4, 1, v4
	v_add_nc_u32_e32 v18, v6, v17
	s_delay_alu instid0(VALU_DEP_2)
	v_add3_u32 v17, v10, v17, v4
	ds_load_u16 v4, v18
	ds_load_u16 v18, v17
	s_waitcnt lgkmcnt(1)
	v_lshlrev_b32_e32 v4, 16, v4
	s_waitcnt lgkmcnt(0)
	v_lshlrev_b32_e32 v18, 16, v18
	s_delay_alu instid0(VALU_DEP_1) | instskip(NEXT) | instid1(VALU_DEP_1)
	v_mul_f32_e32 v4, v18, v4
	v_bfe_u32 v18, v4, 16, 1
	v_cmp_o_f32_e64 s4, v4, v4
	s_delay_alu instid0(VALU_DEP_2) | instskip(SKIP_1) | instid1(VALU_DEP_2)
	v_add3_u32 v18, v4, v18, 0x7fff
	v_mov_b32_e32 v4, v16
	v_lshrrev_b32_e32 v18, 16, v18
	s_delay_alu instid0(VALU_DEP_1)
	v_cndmask_b32_e64 v18, 0x7fc0, v18, s4
	ds_store_b16 v17, v18
	s_branch .LBB96_15
.LBB96_20:                              ;   in Loop: Header=BB96_7 Depth=2
	s_or_b32 exec_lo, exec_lo, s13
	s_and_saveexec_b32 s13, vcc_lo
	s_cbranch_execz .LBB96_6
; %bb.21:                               ;   in Loop: Header=BB96_7 Depth=2
	s_mov_b32 s14, exec_lo
	v_cmpx_gt_u32_e64 s21, v1
	s_cbranch_execz .LBB96_23
; %bb.22:                               ;   in Loop: Header=BB96_7 Depth=2
	ds_load_u16 v4, v7
	v_lshlrev_b64 v[16:17], 1, v[1:2]
	s_delay_alu instid0(VALU_DEP_1) | instskip(NEXT) | instid1(VALU_DEP_1)
	v_add_co_u32 v16, s4, v14, v16
	v_add_co_ci_u32_e64 v17, s4, v15, v17, s4
	s_waitcnt lgkmcnt(0)
	global_store_b16 v[16:17], v4, off
.LBB96_23:                              ;   in Loop: Header=BB96_7 Depth=2
	s_or_b32 exec_lo, exec_lo, s14
	v_cmp_gt_u32_e64 s4, s21, v3
	s_delay_alu instid0(VALU_DEP_1)
	s_and_b32 exec_lo, exec_lo, s4
	s_cbranch_execz .LBB96_6
; %bb.24:                               ;   in Loop: Header=BB96_7 Depth=2
	ds_load_u16 v1, v11
	v_mov_b32_e32 v4, v2
	s_delay_alu instid0(VALU_DEP_1) | instskip(NEXT) | instid1(VALU_DEP_1)
	v_lshlrev_b64 v[3:4], 1, v[3:4]
	v_add_co_u32 v3, s4, v14, v3
	s_delay_alu instid0(VALU_DEP_1)
	v_add_co_ci_u32_e64 v4, s4, v15, v4, s4
	s_waitcnt lgkmcnt(0)
	global_store_b16 v[3:4], v1, off
	s_branch .LBB96_6
.LBB96_25:
	s_mov_b32 s2, 0
.LBB96_26:
	s_delay_alu instid0(SALU_CYCLE_1)
	s_and_not1_b32 vcc_lo, exec_lo, s2
	s_cbranch_vccnz .LBB96_53
; %bb.27:
	s_load_b32 s2, s[0:1], 0x2c
	s_add_u32 s0, s0, 32
	s_addc_u32 s1, s1, 0
	s_mov_b32 s7, 0
	s_waitcnt lgkmcnt(0)
	s_lshr_b32 s2, s2, 16
	s_delay_alu instid0(SALU_CYCLE_1) | instskip(SKIP_1) | instid1(SALU_CYCLE_1)
	s_mul_hi_u32 s5, s2, s15
	s_mul_i32 s4, s2, s15
	v_cmp_ge_u64_e64 s3, s[4:5], s[6:7]
	s_delay_alu instid0(VALU_DEP_1)
	s_and_b32 vcc_lo, exec_lo, s3
	s_cbranch_vccnz .LBB96_53
; %bb.28:
	s_load_b32 s1, s[0:1], 0x0
	v_dual_mov_b32 v1, 0 :: v_dual_and_b32 v0, 0x3ff, v0
	s_lshl_b32 s8, 1, s22
	s_and_b32 s2, 0xffff, s2
	s_ashr_i32 s9, s8, 31
	s_cmp_lg_u32 s21, 0
	v_lshl_add_u32 v11, v0, 1, v10
	s_cselect_b32 s3, -1, 0
	s_lshl_b64 s[12:13], s[8:9], 1
	v_cmp_eq_u32_e64 s0, 0, v0
	s_lshl_b32 s11, s12, 1
	v_lshl_add_u32 v13, s8, 1, v11
	v_add3_u32 v12, v10, s11, -2
	s_mov_b32 s10, s21
	s_mov_b32 s11, s7
	s_add_i32 s21, s22, 1
	s_waitcnt lgkmcnt(0)
	s_mul_i32 s20, s1, s2
	s_branch .LBB96_30
.LBB96_29:                              ;   in Loop: Header=BB96_30 Depth=1
	s_add_u32 s4, s4, s20
	s_addc_u32 s5, s5, 0
	s_delay_alu instid0(SALU_CYCLE_1) | instskip(NEXT) | instid1(VALU_DEP_1)
	v_cmp_ge_u64_e64 s1, s[4:5], s[6:7]
	s_and_b32 vcc_lo, exec_lo, s1
	s_cbranch_vccnz .LBB96_53
.LBB96_30:                              ; =>This Loop Header: Depth=1
                                        ;     Child Loop BB96_33 Depth 2
                                        ;       Child Loop BB96_43 Depth 3
	s_and_not1_b32 vcc_lo, exec_lo, s3
	s_cbranch_vccnz .LBB96_29
; %bb.31:                               ;   in Loop: Header=BB96_30 Depth=1
	v_add_co_u32 v2, s1, s4, v9
	s_delay_alu instid0(VALU_DEP_1) | instskip(SKIP_1) | instid1(VALU_DEP_2)
	v_add_co_ci_u32_e64 v3, null, s5, 0, s1
	s_mov_b64 s[14:15], 0
	v_mad_u64_u32 v[4:5], null, v2, s10, 0
	s_delay_alu instid0(VALU_DEP_2) | instskip(SKIP_1) | instid1(VALU_DEP_3)
	v_cmp_gt_u64_e64 s1, s[6:7], v[2:3]
	v_cmp_le_u64_e64 s2, s[6:7], v[2:3]
	v_mad_u64_u32 v[6:7], null, v3, s10, v[5:6]
	s_delay_alu instid0(VALU_DEP_1) | instskip(NEXT) | instid1(VALU_DEP_1)
	v_dual_mov_b32 v5, v6 :: v_dual_mov_b32 v6, s23
	v_lshlrev_b64 v[4:5], 1, v[4:5]
	s_delay_alu instid0(VALU_DEP_1) | instskip(NEXT) | instid1(VALU_DEP_2)
	v_add_co_u32 v14, vcc_lo, s18, v4
	v_add_co_ci_u32_e32 v15, vcc_lo, s19, v5, vcc_lo
	v_add_co_u32 v16, vcc_lo, s16, v4
	v_add_co_ci_u32_e32 v17, vcc_lo, s17, v5, vcc_lo
	s_branch .LBB96_33
.LBB96_32:                              ;   in Loop: Header=BB96_33 Depth=2
	s_or_b32 exec_lo, exec_lo, s22
	ds_load_u16 v6, v12
	s_add_u32 s14, s14, s12
	s_addc_u32 s15, s15, s13
	s_waitcnt lgkmcnt(0)
	s_waitcnt_vscnt null, 0x0
	v_cmp_ge_u64_e64 s22, s[14:15], s[10:11]
	s_barrier
	buffer_gl0_inv
	s_and_b32 vcc_lo, exec_lo, s22
	s_cbranch_vccnz .LBB96_29
.LBB96_33:                              ;   Parent Loop BB96_30 Depth=1
                                        ; =>  This Loop Header: Depth=2
                                        ;       Child Loop BB96_43 Depth 3
	v_add_co_u32 v4, s22, s14, v0
	s_delay_alu instid0(VALU_DEP_1) | instskip(NEXT) | instid1(VALU_DEP_2)
	v_add_co_ci_u32_e64 v5, null, s15, 0, s22
	v_add_co_u32 v2, vcc_lo, v4, s8
	s_delay_alu instid0(VALU_DEP_2)
	v_add_co_ci_u32_e32 v3, vcc_lo, s9, v5, vcc_lo
	s_and_saveexec_b32 s22, s1
	s_cbranch_execz .LBB96_40
; %bb.34:                               ;   in Loop: Header=BB96_33 Depth=2
	v_mov_b32_e32 v7, s23
	s_mov_b32 s24, exec_lo
	v_cmpx_gt_u64_e64 s[10:11], v[4:5]
	s_cbranch_execz .LBB96_36
; %bb.35:                               ;   in Loop: Header=BB96_33 Depth=2
	v_lshlrev_b64 v[7:8], 1, v[4:5]
	s_delay_alu instid0(VALU_DEP_1) | instskip(NEXT) | instid1(VALU_DEP_2)
	v_add_co_u32 v7, vcc_lo, v14, v7
	v_add_co_ci_u32_e32 v8, vcc_lo, v15, v8, vcc_lo
	global_load_u16 v7, v[7:8], off
.LBB96_36:                              ;   in Loop: Header=BB96_33 Depth=2
	s_or_b32 exec_lo, exec_lo, s24
	v_mov_b32_e32 v8, s23
	s_mov_b32 s24, exec_lo
	s_waitcnt vmcnt(0)
	ds_store_b16 v11, v7
	v_cmpx_gt_u64_e64 s[10:11], v[2:3]
	s_cbranch_execz .LBB96_38
; %bb.37:                               ;   in Loop: Header=BB96_33 Depth=2
	v_lshlrev_b64 v[7:8], 1, v[2:3]
	s_delay_alu instid0(VALU_DEP_1) | instskip(NEXT) | instid1(VALU_DEP_2)
	v_add_co_u32 v7, vcc_lo, v14, v7
	v_add_co_ci_u32_e32 v8, vcc_lo, v15, v8, vcc_lo
	global_load_u16 v8, v[7:8], off
.LBB96_38:                              ;   in Loop: Header=BB96_33 Depth=2
	s_or_b32 exec_lo, exec_lo, s24
	s_waitcnt vmcnt(0)
	ds_store_b16 v13, v8
	s_and_b32 exec_lo, exec_lo, s0
	s_cbranch_execz .LBB96_40
; %bb.39:                               ;   in Loop: Header=BB96_33 Depth=2
	ds_load_u16 v7, v10
	v_lshlrev_b32_e32 v6, 16, v6
	s_waitcnt lgkmcnt(0)
	v_lshlrev_b32_e32 v7, 16, v7
	s_delay_alu instid0(VALU_DEP_1) | instskip(NEXT) | instid1(VALU_DEP_1)
	v_mul_f32_e32 v6, v6, v7
	v_bfe_u32 v7, v6, 16, 1
	v_cmp_o_f32_e32 vcc_lo, v6, v6
	s_delay_alu instid0(VALU_DEP_2) | instskip(NEXT) | instid1(VALU_DEP_1)
	v_add3_u32 v7, v6, v7, 0x7fff
	v_lshrrev_b32_e32 v7, 16, v7
	s_delay_alu instid0(VALU_DEP_1)
	v_cndmask_b32_e32 v6, 0x7fc0, v7, vcc_lo
	ds_store_b16 v10, v6
.LBB96_40:                              ;   in Loop: Header=BB96_33 Depth=2
	s_or_b32 exec_lo, exec_lo, s22
	v_mov_b32_e32 v19, 0
	s_mov_b32 s22, 0
	s_waitcnt lgkmcnt(0)
	s_barrier
	buffer_gl0_inv
	s_branch .LBB96_43
.LBB96_41:                              ;   in Loop: Header=BB96_43 Depth=3
	s_or_b32 exec_lo, exec_lo, s25
	v_lshrrev_b32_e32 v8, v19, v0
	s_delay_alu instid0(VALU_DEP_1) | instskip(NEXT) | instid1(VALU_DEP_1)
	v_lshl_or_b32 v6, v8, v18, v6
	v_lshl_add_u32 v6, v6, 1, v10
	s_delay_alu instid0(VALU_DEP_1)
	v_add_nc_u32_e32 v8, -2, v6
	v_lshl_add_u32 v6, v7, 1, v6
	ds_load_u16 v7, v8
	ds_load_u16 v8, v6
	s_waitcnt lgkmcnt(1)
	v_lshlrev_b32_e32 v7, 16, v7
	s_waitcnt lgkmcnt(0)
	v_lshlrev_b32_e32 v8, 16, v8
	s_delay_alu instid0(VALU_DEP_1) | instskip(NEXT) | instid1(VALU_DEP_1)
	v_mul_f32_e32 v7, v8, v7
	v_bfe_u32 v8, v7, 16, 1
	v_cmp_o_f32_e32 vcc_lo, v7, v7
	s_delay_alu instid0(VALU_DEP_2) | instskip(NEXT) | instid1(VALU_DEP_1)
	v_add3_u32 v8, v7, v8, 0x7fff
	v_lshrrev_b32_e32 v8, 16, v8
	s_delay_alu instid0(VALU_DEP_1)
	v_cndmask_b32_e32 v7, 0x7fc0, v8, vcc_lo
	ds_store_b16 v6, v7
.LBB96_42:                              ;   in Loop: Header=BB96_43 Depth=3
	s_or_b32 exec_lo, exec_lo, s24
	s_delay_alu instid0(VALU_DEP_1)
	v_cmp_eq_u32_e32 vcc_lo, s21, v18
	v_mov_b32_e32 v19, v18
	s_waitcnt lgkmcnt(0)
	s_barrier
	buffer_gl0_inv
	s_or_b32 s22, vcc_lo, s22
	s_delay_alu instid0(SALU_CYCLE_1)
	s_and_not1_b32 exec_lo, exec_lo, s22
	s_cbranch_execz .LBB96_48
.LBB96_43:                              ;   Parent Loop BB96_30 Depth=1
                                        ;     Parent Loop BB96_33 Depth=2
                                        ; =>    This Inner Loop Header: Depth=3
	v_add_nc_u32_e32 v18, 1, v19
	s_and_saveexec_b32 s24, s2
	s_delay_alu instid0(SALU_CYCLE_1)
	s_xor_b32 s24, exec_lo, s24
; %bb.44:                               ;   in Loop: Header=BB96_43 Depth=3
	v_add_nc_u32_e32 v18, 1, v19
                                        ; implicit-def: $vgpr19
; %bb.45:                               ;   in Loop: Header=BB96_43 Depth=3
	s_and_not1_saveexec_b32 s24, s24
	s_cbranch_execz .LBB96_42
; %bb.46:                               ;   in Loop: Header=BB96_43 Depth=3
	v_lshlrev_b32_e64 v6, v19, 1
	s_delay_alu instid0(VALU_DEP_1) | instskip(NEXT) | instid1(VALU_DEP_1)
	v_ashrrev_i32_e32 v7, 31, v6
	v_cmp_ge_u64_e32 vcc_lo, v[0:1], v[6:7]
	v_dual_mov_b32 v8, v1 :: v_dual_mov_b32 v7, v0
	s_and_saveexec_b32 s25, vcc_lo
	s_cbranch_execz .LBB96_41
; %bb.47:                               ;   in Loop: Header=BB96_43 Depth=3
	v_cvt_f32_u32_e32 v7, v6
	v_sub_nc_u32_e32 v8, 0, v6
	s_delay_alu instid0(VALU_DEP_2) | instskip(SKIP_2) | instid1(VALU_DEP_1)
	v_rcp_iflag_f32_e32 v7, v7
	s_waitcnt_depctr 0xfff
	v_mul_f32_e32 v7, 0x4f7ffffe, v7
	v_cvt_u32_f32_e32 v7, v7
	s_delay_alu instid0(VALU_DEP_1) | instskip(NEXT) | instid1(VALU_DEP_1)
	v_mul_lo_u32 v8, v8, v7
	v_mul_hi_u32 v8, v7, v8
	s_delay_alu instid0(VALU_DEP_1) | instskip(NEXT) | instid1(VALU_DEP_1)
	v_add_nc_u32_e32 v7, v7, v8
	v_mul_hi_u32 v7, v0, v7
	s_delay_alu instid0(VALU_DEP_1) | instskip(NEXT) | instid1(VALU_DEP_1)
	v_mul_lo_u32 v7, v7, v6
	v_sub_nc_u32_e32 v7, v0, v7
	s_delay_alu instid0(VALU_DEP_1) | instskip(SKIP_1) | instid1(VALU_DEP_2)
	v_sub_nc_u32_e32 v8, v7, v6
	v_cmp_ge_u32_e32 vcc_lo, v7, v6
	v_cndmask_b32_e32 v7, v7, v8, vcc_lo
	s_delay_alu instid0(VALU_DEP_1) | instskip(SKIP_1) | instid1(VALU_DEP_2)
	v_sub_nc_u32_e32 v8, v7, v6
	v_cmp_ge_u32_e32 vcc_lo, v7, v6
	v_cndmask_b32_e32 v7, v7, v8, vcc_lo
	s_branch .LBB96_41
.LBB96_48:                              ;   in Loop: Header=BB96_33 Depth=2
	s_or_b32 exec_lo, exec_lo, s22
	s_and_saveexec_b32 s22, s1
	s_cbranch_execz .LBB96_32
; %bb.49:                               ;   in Loop: Header=BB96_33 Depth=2
	s_mov_b32 s24, exec_lo
	v_cmpx_gt_u64_e64 s[10:11], v[4:5]
	s_cbranch_execz .LBB96_51
; %bb.50:                               ;   in Loop: Header=BB96_33 Depth=2
	ds_load_u16 v6, v11
	v_lshlrev_b64 v[4:5], 1, v[4:5]
	s_delay_alu instid0(VALU_DEP_1) | instskip(NEXT) | instid1(VALU_DEP_2)
	v_add_co_u32 v4, vcc_lo, v16, v4
	v_add_co_ci_u32_e32 v5, vcc_lo, v17, v5, vcc_lo
	s_waitcnt lgkmcnt(0)
	global_store_b16 v[4:5], v6, off
.LBB96_51:                              ;   in Loop: Header=BB96_33 Depth=2
	s_or_b32 exec_lo, exec_lo, s24
	v_cmp_gt_u64_e32 vcc_lo, s[10:11], v[2:3]
	s_and_b32 exec_lo, exec_lo, vcc_lo
	s_cbranch_execz .LBB96_32
; %bb.52:                               ;   in Loop: Header=BB96_33 Depth=2
	ds_load_u16 v4, v13
	v_lshlrev_b64 v[2:3], 1, v[2:3]
	s_delay_alu instid0(VALU_DEP_1) | instskip(NEXT) | instid1(VALU_DEP_2)
	v_add_co_u32 v2, vcc_lo, v16, v2
	v_add_co_ci_u32_e32 v3, vcc_lo, v17, v3, vcc_lo
	s_waitcnt lgkmcnt(0)
	global_store_b16 v[2:3], v4, off
	s_branch .LBB96_32
.LBB96_53:
	s_endpgm
	.section	.rodata,"a",@progbits
	.p2align	6, 0x0
	.amdhsa_kernel _ZN2at6native32tensor_kernel_scan_innermost_dimIN3c108BFloat16ESt10multipliesIS3_EEEvPT_PKS6_jjjS6_T0_
		.amdhsa_group_segment_fixed_size 0
		.amdhsa_private_segment_fixed_size 0
		.amdhsa_kernarg_size 288
		.amdhsa_user_sgpr_count 15
		.amdhsa_user_sgpr_dispatch_ptr 0
		.amdhsa_user_sgpr_queue_ptr 0
		.amdhsa_user_sgpr_kernarg_segment_ptr 1
		.amdhsa_user_sgpr_dispatch_id 0
		.amdhsa_user_sgpr_private_segment_size 0
		.amdhsa_wavefront_size32 1
		.amdhsa_uses_dynamic_stack 0
		.amdhsa_enable_private_segment 0
		.amdhsa_system_sgpr_workgroup_id_x 1
		.amdhsa_system_sgpr_workgroup_id_y 0
		.amdhsa_system_sgpr_workgroup_id_z 0
		.amdhsa_system_sgpr_workgroup_info 0
		.amdhsa_system_vgpr_workitem_id 1
		.amdhsa_next_free_vgpr 20
		.amdhsa_next_free_sgpr 26
		.amdhsa_reserve_vcc 1
		.amdhsa_float_round_mode_32 0
		.amdhsa_float_round_mode_16_64 0
		.amdhsa_float_denorm_mode_32 3
		.amdhsa_float_denorm_mode_16_64 3
		.amdhsa_dx10_clamp 1
		.amdhsa_ieee_mode 1
		.amdhsa_fp16_overflow 0
		.amdhsa_workgroup_processor_mode 1
		.amdhsa_memory_ordered 1
		.amdhsa_forward_progress 0
		.amdhsa_shared_vgpr_count 0
		.amdhsa_exception_fp_ieee_invalid_op 0
		.amdhsa_exception_fp_denorm_src 0
		.amdhsa_exception_fp_ieee_div_zero 0
		.amdhsa_exception_fp_ieee_overflow 0
		.amdhsa_exception_fp_ieee_underflow 0
		.amdhsa_exception_fp_ieee_inexact 0
		.amdhsa_exception_int_div_zero 0
	.end_amdhsa_kernel
	.section	.text._ZN2at6native32tensor_kernel_scan_innermost_dimIN3c108BFloat16ESt10multipliesIS3_EEEvPT_PKS6_jjjS6_T0_,"axG",@progbits,_ZN2at6native32tensor_kernel_scan_innermost_dimIN3c108BFloat16ESt10multipliesIS3_EEEvPT_PKS6_jjjS6_T0_,comdat
.Lfunc_end96:
	.size	_ZN2at6native32tensor_kernel_scan_innermost_dimIN3c108BFloat16ESt10multipliesIS3_EEEvPT_PKS6_jjjS6_T0_, .Lfunc_end96-_ZN2at6native32tensor_kernel_scan_innermost_dimIN3c108BFloat16ESt10multipliesIS3_EEEvPT_PKS6_jjjS6_T0_
                                        ; -- End function
	.section	.AMDGPU.csdata,"",@progbits
; Kernel info:
; codeLenInByte = 2252
; NumSgprs: 28
; NumVgprs: 20
; ScratchSize: 0
; MemoryBound: 0
; FloatMode: 240
; IeeeMode: 1
; LDSByteSize: 0 bytes/workgroup (compile time only)
; SGPRBlocks: 3
; VGPRBlocks: 2
; NumSGPRsForWavesPerEU: 28
; NumVGPRsForWavesPerEU: 20
; Occupancy: 16
; WaveLimiterHint : 0
; COMPUTE_PGM_RSRC2:SCRATCH_EN: 0
; COMPUTE_PGM_RSRC2:USER_SGPR: 15
; COMPUTE_PGM_RSRC2:TRAP_HANDLER: 0
; COMPUTE_PGM_RSRC2:TGID_X_EN: 1
; COMPUTE_PGM_RSRC2:TGID_Y_EN: 0
; COMPUTE_PGM_RSRC2:TGID_Z_EN: 0
; COMPUTE_PGM_RSRC2:TIDIG_COMP_CNT: 1
	.section	.text._ZN2at6native28tensor_kernel_scan_outer_dimIN3c108BFloat16EjSt10multipliesIS3_EEEvPT_PKS6_jjjS6_T1_,"axG",@progbits,_ZN2at6native28tensor_kernel_scan_outer_dimIN3c108BFloat16EjSt10multipliesIS3_EEEvPT_PKS6_jjjS6_T1_,comdat
	.protected	_ZN2at6native28tensor_kernel_scan_outer_dimIN3c108BFloat16EjSt10multipliesIS3_EEEvPT_PKS6_jjjS6_T1_ ; -- Begin function _ZN2at6native28tensor_kernel_scan_outer_dimIN3c108BFloat16EjSt10multipliesIS3_EEEvPT_PKS6_jjjS6_T1_
	.globl	_ZN2at6native28tensor_kernel_scan_outer_dimIN3c108BFloat16EjSt10multipliesIS3_EEEvPT_PKS6_jjjS6_T1_
	.p2align	8
	.type	_ZN2at6native28tensor_kernel_scan_outer_dimIN3c108BFloat16EjSt10multipliesIS3_EEEvPT_PKS6_jjjS6_T1_,@function
_ZN2at6native28tensor_kernel_scan_outer_dimIN3c108BFloat16EjSt10multipliesIS3_EEEvPT_PKS6_jjjS6_T1_: ; @_ZN2at6native28tensor_kernel_scan_outer_dimIN3c108BFloat16EjSt10multipliesIS3_EEEvPT_PKS6_jjjS6_T1_
; %bb.0:
	s_load_b128 s[4:7], s[0:1], 0x10
	s_waitcnt lgkmcnt(0)
	s_cmp_ge_u32 s14, s4
	s_cbranch_scc1 .LBB97_9
; %bb.1:
	s_clause 0x2
	s_load_b32 s12, s[0:1], 0x2c
	s_load_b32 s20, s[0:1], 0x20
	s_load_b128 s[8:11], s[0:1], 0x0
	s_add_u32 s2, s0, 32
	s_addc_u32 s3, s1, 0
	s_mul_i32 s0, s14, s6
	v_mov_b32_e32 v3, 0
	s_mul_i32 s1, s0, s5
	s_mov_b32 s13, 0
	s_waitcnt lgkmcnt(0)
	s_and_b32 s21, s12, 0xffff
	s_mov_b32 s12, s5
	v_mad_u64_u32 v[1:2], null, s15, s21, v[0:1]
	s_cmp_lg_u32 s6, 0
	s_mul_i32 s22, s20, s6
	s_cselect_b32 s15, -1, 0
	s_mul_i32 s22, s22, s5
	s_lshl_b64 s[16:17], s[12:13], 1
	s_mov_b32 s12, s1
	s_delay_alu instid0(VALU_DEP_1)
	v_cmp_gt_u32_e64 s0, s5, v1
	s_branch .LBB97_3
.LBB97_2:                               ;   in Loop: Header=BB97_3 Depth=1
	s_set_inst_prefetch_distance 0x2
	s_or_b32 exec_lo, exec_lo, s23
	s_add_i32 s14, s20, s14
	s_add_i32 s12, s12, s22
	s_cmp_ge_u32 s14, s4
	s_cbranch_scc1 .LBB97_9
.LBB97_3:                               ; =>This Loop Header: Depth=1
                                        ;     Child Loop BB97_6 Depth 2
                                        ;       Child Loop BB97_8 Depth 3
	s_delay_alu instid0(VALU_DEP_1)
	s_and_saveexec_b32 s23, s0
	s_cbranch_execz .LBB97_2
; %bb.4:                                ;   in Loop: Header=BB97_3 Depth=1
	s_load_b32 s24, s[2:3], 0x4
	v_mov_b32_e32 v2, v1
	s_lshl_b64 s[18:19], s[12:13], 1
	s_mov_b32 s25, 0
	s_waitcnt lgkmcnt(0)
	s_mul_i32 s24, s24, s21
	s_set_inst_prefetch_distance 0x1
	s_branch .LBB97_6
	.p2align	6
.LBB97_5:                               ;   in Loop: Header=BB97_6 Depth=2
	v_add_nc_u32_e32 v2, s24, v2
	s_delay_alu instid0(VALU_DEP_1) | instskip(SKIP_1) | instid1(SALU_CYCLE_1)
	v_cmp_le_u32_e32 vcc_lo, s5, v2
	s_or_b32 s25, vcc_lo, s25
	s_and_not1_b32 exec_lo, exec_lo, s25
	s_cbranch_execz .LBB97_2
.LBB97_6:                               ;   Parent Loop BB97_3 Depth=1
                                        ; =>  This Loop Header: Depth=2
                                        ;       Child Loop BB97_8 Depth 3
	s_and_not1_b32 vcc_lo, exec_lo, s15
	s_cbranch_vccnz .LBB97_5
; %bb.7:                                ;   in Loop: Header=BB97_6 Depth=2
	v_lshlrev_b64 v[4:5], 1, v[2:3]
	s_mov_b32 s26, s6
	s_delay_alu instid0(VALU_DEP_1) | instskip(NEXT) | instid1(VALU_DEP_2)
	v_add_co_u32 v0, vcc_lo, s18, v4
	v_add_co_ci_u32_e32 v4, vcc_lo, s19, v5, vcc_lo
	v_mov_b32_e32 v5, s7
	.p2align	6
.LBB97_8:                               ;   Parent Loop BB97_3 Depth=1
                                        ;     Parent Loop BB97_6 Depth=2
                                        ; =>    This Inner Loop Header: Depth=3
	s_delay_alu instid0(VALU_DEP_3) | instskip(NEXT) | instid1(VALU_DEP_3)
	v_add_co_u32 v6, vcc_lo, s10, v0
	v_add_co_ci_u32_e32 v7, vcc_lo, s11, v4, vcc_lo
	s_delay_alu instid0(VALU_DEP_3) | instskip(SKIP_1) | instid1(SALU_CYCLE_1)
	v_lshlrev_b32_e32 v5, 16, v5
	s_add_i32 s26, s26, -1
	s_cmp_eq_u32 s26, 0
	global_load_u16 v6, v[6:7], off
	s_waitcnt vmcnt(0)
	v_lshlrev_b32_e32 v6, 16, v6
	s_delay_alu instid0(VALU_DEP_1) | instskip(SKIP_1) | instid1(VALU_DEP_2)
	v_mul_f32_e32 v5, v5, v6
	v_add_co_u32 v6, vcc_lo, s8, v0
	v_bfe_u32 v7, v5, 16, 1
	v_cmp_o_f32_e64 s1, v5, v5
	s_delay_alu instid0(VALU_DEP_2) | instskip(SKIP_2) | instid1(VALU_DEP_3)
	v_add3_u32 v8, v5, v7, 0x7fff
	v_add_co_ci_u32_e32 v7, vcc_lo, s9, v4, vcc_lo
	v_add_co_u32 v0, vcc_lo, v0, s16
	v_lshrrev_b32_e32 v8, 16, v8
	v_add_co_ci_u32_e32 v4, vcc_lo, s17, v4, vcc_lo
	s_delay_alu instid0(VALU_DEP_2)
	v_cndmask_b32_e64 v5, 0x7fc0, v8, s1
	global_store_b16 v[6:7], v5, off
	s_cbranch_scc0 .LBB97_8
	s_branch .LBB97_5
.LBB97_9:
	s_nop 0
	s_sendmsg sendmsg(MSG_DEALLOC_VGPRS)
	s_endpgm
	.section	.rodata,"a",@progbits
	.p2align	6, 0x0
	.amdhsa_kernel _ZN2at6native28tensor_kernel_scan_outer_dimIN3c108BFloat16EjSt10multipliesIS3_EEEvPT_PKS6_jjjS6_T1_
		.amdhsa_group_segment_fixed_size 0
		.amdhsa_private_segment_fixed_size 0
		.amdhsa_kernarg_size 288
		.amdhsa_user_sgpr_count 14
		.amdhsa_user_sgpr_dispatch_ptr 0
		.amdhsa_user_sgpr_queue_ptr 0
		.amdhsa_user_sgpr_kernarg_segment_ptr 1
		.amdhsa_user_sgpr_dispatch_id 0
		.amdhsa_user_sgpr_private_segment_size 0
		.amdhsa_wavefront_size32 1
		.amdhsa_uses_dynamic_stack 0
		.amdhsa_enable_private_segment 0
		.amdhsa_system_sgpr_workgroup_id_x 1
		.amdhsa_system_sgpr_workgroup_id_y 1
		.amdhsa_system_sgpr_workgroup_id_z 0
		.amdhsa_system_sgpr_workgroup_info 0
		.amdhsa_system_vgpr_workitem_id 0
		.amdhsa_next_free_vgpr 9
		.amdhsa_next_free_sgpr 27
		.amdhsa_reserve_vcc 1
		.amdhsa_float_round_mode_32 0
		.amdhsa_float_round_mode_16_64 0
		.amdhsa_float_denorm_mode_32 3
		.amdhsa_float_denorm_mode_16_64 3
		.amdhsa_dx10_clamp 1
		.amdhsa_ieee_mode 1
		.amdhsa_fp16_overflow 0
		.amdhsa_workgroup_processor_mode 1
		.amdhsa_memory_ordered 1
		.amdhsa_forward_progress 0
		.amdhsa_shared_vgpr_count 0
		.amdhsa_exception_fp_ieee_invalid_op 0
		.amdhsa_exception_fp_denorm_src 0
		.amdhsa_exception_fp_ieee_div_zero 0
		.amdhsa_exception_fp_ieee_overflow 0
		.amdhsa_exception_fp_ieee_underflow 0
		.amdhsa_exception_fp_ieee_inexact 0
		.amdhsa_exception_int_div_zero 0
	.end_amdhsa_kernel
	.section	.text._ZN2at6native28tensor_kernel_scan_outer_dimIN3c108BFloat16EjSt10multipliesIS3_EEEvPT_PKS6_jjjS6_T1_,"axG",@progbits,_ZN2at6native28tensor_kernel_scan_outer_dimIN3c108BFloat16EjSt10multipliesIS3_EEEvPT_PKS6_jjjS6_T1_,comdat
.Lfunc_end97:
	.size	_ZN2at6native28tensor_kernel_scan_outer_dimIN3c108BFloat16EjSt10multipliesIS3_EEEvPT_PKS6_jjjS6_T1_, .Lfunc_end97-_ZN2at6native28tensor_kernel_scan_outer_dimIN3c108BFloat16EjSt10multipliesIS3_EEEvPT_PKS6_jjjS6_T1_
                                        ; -- End function
	.section	.AMDGPU.csdata,"",@progbits
; Kernel info:
; codeLenInByte = 432
; NumSgprs: 29
; NumVgprs: 9
; ScratchSize: 0
; MemoryBound: 0
; FloatMode: 240
; IeeeMode: 1
; LDSByteSize: 0 bytes/workgroup (compile time only)
; SGPRBlocks: 3
; VGPRBlocks: 1
; NumSGPRsForWavesPerEU: 29
; NumVGPRsForWavesPerEU: 9
; Occupancy: 16
; WaveLimiterHint : 0
; COMPUTE_PGM_RSRC2:SCRATCH_EN: 0
; COMPUTE_PGM_RSRC2:USER_SGPR: 14
; COMPUTE_PGM_RSRC2:TRAP_HANDLER: 0
; COMPUTE_PGM_RSRC2:TGID_X_EN: 1
; COMPUTE_PGM_RSRC2:TGID_Y_EN: 1
; COMPUTE_PGM_RSRC2:TGID_Z_EN: 0
; COMPUTE_PGM_RSRC2:TIDIG_COMP_CNT: 0
	.section	.text._ZN2at6native28tensor_kernel_scan_outer_dimIN3c108BFloat16EmSt10multipliesIS3_EEEvPT_PKS6_jjjS6_T1_,"axG",@progbits,_ZN2at6native28tensor_kernel_scan_outer_dimIN3c108BFloat16EmSt10multipliesIS3_EEEvPT_PKS6_jjjS6_T1_,comdat
	.protected	_ZN2at6native28tensor_kernel_scan_outer_dimIN3c108BFloat16EmSt10multipliesIS3_EEEvPT_PKS6_jjjS6_T1_ ; -- Begin function _ZN2at6native28tensor_kernel_scan_outer_dimIN3c108BFloat16EmSt10multipliesIS3_EEEvPT_PKS6_jjjS6_T1_
	.globl	_ZN2at6native28tensor_kernel_scan_outer_dimIN3c108BFloat16EmSt10multipliesIS3_EEEvPT_PKS6_jjjS6_T1_
	.p2align	8
	.type	_ZN2at6native28tensor_kernel_scan_outer_dimIN3c108BFloat16EmSt10multipliesIS3_EEEvPT_PKS6_jjjS6_T1_,@function
_ZN2at6native28tensor_kernel_scan_outer_dimIN3c108BFloat16EmSt10multipliesIS3_EEEvPT_PKS6_jjjS6_T1_: ; @_ZN2at6native28tensor_kernel_scan_outer_dimIN3c108BFloat16EmSt10multipliesIS3_EEEvPT_PKS6_jjjS6_T1_
; %bb.0:
	s_load_b128 s[4:7], s[0:1], 0x10
	s_waitcnt lgkmcnt(0)
	s_cmp_ge_u32 s14, s4
	s_cbranch_scc1 .LBB98_9
; %bb.1:
	s_clause 0x2
	s_load_b32 s12, s[0:1], 0x2c
	s_load_b128 s[8:11], s[0:1], 0x0
	s_load_b32 s18, s[0:1], 0x20
	s_add_u32 s2, s0, 32
	s_addc_u32 s3, s1, 0
	v_mov_b32_e32 v3, 0
	s_mov_b32 s17, 0
	s_mul_hi_u32 s13, s6, s5
	s_mov_b32 s16, s5
	s_waitcnt lgkmcnt(0)
	s_and_b32 s19, s12, 0xffff
	s_cmp_lg_u32 s6, 0
	v_mad_u64_u32 v[1:2], null, s15, s19, v[0:1]
	s_mul_i32 s12, s6, s5
	s_cselect_b32 s15, -1, 0
	s_lshl_b64 s[12:13], s[12:13], 1
	s_lshl_b64 s[16:17], s[16:17], 1
	s_delay_alu instid0(VALU_DEP_1)
	v_cmp_gt_u32_e64 s0, s5, v1
	s_branch .LBB98_3
.LBB98_2:                               ;   in Loop: Header=BB98_3 Depth=1
	s_set_inst_prefetch_distance 0x2
	s_or_b32 exec_lo, exec_lo, s20
	s_add_i32 s14, s14, s18
	s_delay_alu instid0(SALU_CYCLE_1)
	s_cmp_ge_u32 s14, s4
	s_cbranch_scc1 .LBB98_9
.LBB98_3:                               ; =>This Loop Header: Depth=1
                                        ;     Child Loop BB98_6 Depth 2
                                        ;       Child Loop BB98_8 Depth 3
	s_delay_alu instid0(VALU_DEP_1)
	s_and_saveexec_b32 s20, s0
	s_cbranch_execz .LBB98_2
; %bb.4:                                ;   in Loop: Header=BB98_3 Depth=1
	s_load_b32 s23, s[2:3], 0x4
	v_mov_b32_e32 v2, v1
	s_mul_i32 s1, s13, s14
	s_mul_hi_u32 s22, s12, s14
	s_mul_i32 s21, s12, s14
	s_add_i32 s22, s22, s1
	s_mov_b32 s24, 0
	s_waitcnt lgkmcnt(0)
	s_mul_i32 s23, s23, s19
	s_set_inst_prefetch_distance 0x1
	s_branch .LBB98_6
	.p2align	6
.LBB98_5:                               ;   in Loop: Header=BB98_6 Depth=2
	v_add_nc_u32_e32 v2, s23, v2
	s_delay_alu instid0(VALU_DEP_1) | instskip(SKIP_1) | instid1(SALU_CYCLE_1)
	v_cmp_le_u32_e32 vcc_lo, s5, v2
	s_or_b32 s24, vcc_lo, s24
	s_and_not1_b32 exec_lo, exec_lo, s24
	s_cbranch_execz .LBB98_2
.LBB98_6:                               ;   Parent Loop BB98_3 Depth=1
                                        ; =>  This Loop Header: Depth=2
                                        ;       Child Loop BB98_8 Depth 3
	s_and_not1_b32 vcc_lo, exec_lo, s15
	s_cbranch_vccnz .LBB98_5
; %bb.7:                                ;   in Loop: Header=BB98_6 Depth=2
	v_lshlrev_b64 v[4:5], 1, v[2:3]
	s_mov_b32 s25, s6
	s_delay_alu instid0(VALU_DEP_1) | instskip(NEXT) | instid1(VALU_DEP_2)
	v_add_co_u32 v0, vcc_lo, s21, v4
	v_add_co_ci_u32_e32 v4, vcc_lo, s22, v5, vcc_lo
	v_mov_b32_e32 v5, s7
	.p2align	6
.LBB98_8:                               ;   Parent Loop BB98_3 Depth=1
                                        ;     Parent Loop BB98_6 Depth=2
                                        ; =>    This Inner Loop Header: Depth=3
	s_delay_alu instid0(VALU_DEP_3) | instskip(NEXT) | instid1(VALU_DEP_3)
	v_add_co_u32 v6, vcc_lo, s10, v0
	v_add_co_ci_u32_e32 v7, vcc_lo, s11, v4, vcc_lo
	s_delay_alu instid0(VALU_DEP_3) | instskip(SKIP_1) | instid1(SALU_CYCLE_1)
	v_lshlrev_b32_e32 v5, 16, v5
	s_add_i32 s25, s25, -1
	s_cmp_eq_u32 s25, 0
	global_load_u16 v6, v[6:7], off
	s_waitcnt vmcnt(0)
	v_lshlrev_b32_e32 v6, 16, v6
	s_delay_alu instid0(VALU_DEP_1) | instskip(SKIP_1) | instid1(VALU_DEP_2)
	v_mul_f32_e32 v5, v5, v6
	v_add_co_u32 v6, vcc_lo, s8, v0
	v_bfe_u32 v7, v5, 16, 1
	v_cmp_o_f32_e64 s1, v5, v5
	s_delay_alu instid0(VALU_DEP_2) | instskip(SKIP_2) | instid1(VALU_DEP_3)
	v_add3_u32 v8, v5, v7, 0x7fff
	v_add_co_ci_u32_e32 v7, vcc_lo, s9, v4, vcc_lo
	v_add_co_u32 v0, vcc_lo, v0, s16
	v_lshrrev_b32_e32 v8, 16, v8
	v_add_co_ci_u32_e32 v4, vcc_lo, s17, v4, vcc_lo
	s_delay_alu instid0(VALU_DEP_2)
	v_cndmask_b32_e64 v5, 0x7fc0, v8, s1
	global_store_b16 v[6:7], v5, off
	s_cbranch_scc0 .LBB98_8
	s_branch .LBB98_5
.LBB98_9:
	s_nop 0
	s_sendmsg sendmsg(MSG_DEALLOC_VGPRS)
	s_endpgm
	.section	.rodata,"a",@progbits
	.p2align	6, 0x0
	.amdhsa_kernel _ZN2at6native28tensor_kernel_scan_outer_dimIN3c108BFloat16EmSt10multipliesIS3_EEEvPT_PKS6_jjjS6_T1_
		.amdhsa_group_segment_fixed_size 0
		.amdhsa_private_segment_fixed_size 0
		.amdhsa_kernarg_size 288
		.amdhsa_user_sgpr_count 14
		.amdhsa_user_sgpr_dispatch_ptr 0
		.amdhsa_user_sgpr_queue_ptr 0
		.amdhsa_user_sgpr_kernarg_segment_ptr 1
		.amdhsa_user_sgpr_dispatch_id 0
		.amdhsa_user_sgpr_private_segment_size 0
		.amdhsa_wavefront_size32 1
		.amdhsa_uses_dynamic_stack 0
		.amdhsa_enable_private_segment 0
		.amdhsa_system_sgpr_workgroup_id_x 1
		.amdhsa_system_sgpr_workgroup_id_y 1
		.amdhsa_system_sgpr_workgroup_id_z 0
		.amdhsa_system_sgpr_workgroup_info 0
		.amdhsa_system_vgpr_workitem_id 0
		.amdhsa_next_free_vgpr 9
		.amdhsa_next_free_sgpr 26
		.amdhsa_reserve_vcc 1
		.amdhsa_float_round_mode_32 0
		.amdhsa_float_round_mode_16_64 0
		.amdhsa_float_denorm_mode_32 3
		.amdhsa_float_denorm_mode_16_64 3
		.amdhsa_dx10_clamp 1
		.amdhsa_ieee_mode 1
		.amdhsa_fp16_overflow 0
		.amdhsa_workgroup_processor_mode 1
		.amdhsa_memory_ordered 1
		.amdhsa_forward_progress 0
		.amdhsa_shared_vgpr_count 0
		.amdhsa_exception_fp_ieee_invalid_op 0
		.amdhsa_exception_fp_denorm_src 0
		.amdhsa_exception_fp_ieee_div_zero 0
		.amdhsa_exception_fp_ieee_overflow 0
		.amdhsa_exception_fp_ieee_underflow 0
		.amdhsa_exception_fp_ieee_inexact 0
		.amdhsa_exception_int_div_zero 0
	.end_amdhsa_kernel
	.section	.text._ZN2at6native28tensor_kernel_scan_outer_dimIN3c108BFloat16EmSt10multipliesIS3_EEEvPT_PKS6_jjjS6_T1_,"axG",@progbits,_ZN2at6native28tensor_kernel_scan_outer_dimIN3c108BFloat16EmSt10multipliesIS3_EEEvPT_PKS6_jjjS6_T1_,comdat
.Lfunc_end98:
	.size	_ZN2at6native28tensor_kernel_scan_outer_dimIN3c108BFloat16EmSt10multipliesIS3_EEEvPT_PKS6_jjjS6_T1_, .Lfunc_end98-_ZN2at6native28tensor_kernel_scan_outer_dimIN3c108BFloat16EmSt10multipliesIS3_EEEvPT_PKS6_jjjS6_T1_
                                        ; -- End function
	.section	.AMDGPU.csdata,"",@progbits
; Kernel info:
; codeLenInByte = 436
; NumSgprs: 28
; NumVgprs: 9
; ScratchSize: 0
; MemoryBound: 0
; FloatMode: 240
; IeeeMode: 1
; LDSByteSize: 0 bytes/workgroup (compile time only)
; SGPRBlocks: 3
; VGPRBlocks: 1
; NumSGPRsForWavesPerEU: 28
; NumVGPRsForWavesPerEU: 9
; Occupancy: 16
; WaveLimiterHint : 0
; COMPUTE_PGM_RSRC2:SCRATCH_EN: 0
; COMPUTE_PGM_RSRC2:USER_SGPR: 14
; COMPUTE_PGM_RSRC2:TRAP_HANDLER: 0
; COMPUTE_PGM_RSRC2:TGID_X_EN: 1
; COMPUTE_PGM_RSRC2:TGID_Y_EN: 1
; COMPUTE_PGM_RSRC2:TGID_Z_EN: 0
; COMPUTE_PGM_RSRC2:TIDIG_COMP_CNT: 0
	.text
	.p2alignl 7, 3214868480
	.fill 96, 4, 3214868480
	.type	__hip_cuid_445ce16b13f1d2ca,@object ; @__hip_cuid_445ce16b13f1d2ca
	.section	.bss,"aw",@nobits
	.globl	__hip_cuid_445ce16b13f1d2ca
__hip_cuid_445ce16b13f1d2ca:
	.byte	0                               ; 0x0
	.size	__hip_cuid_445ce16b13f1d2ca, 1

	.ident	"AMD clang version 19.0.0git (https://github.com/RadeonOpenCompute/llvm-project roc-6.4.0 25133 c7fe45cf4b819c5991fe208aaa96edf142730f1d)"
	.section	".note.GNU-stack","",@progbits
	.addrsig
	.addrsig_sym __hip_cuid_445ce16b13f1d2ca
	.amdgpu_metadata
---
amdhsa.kernels:
  - .args:
      - .address_space:  global
        .offset:         0
        .size:           8
        .value_kind:     global_buffer
      - .offset:         8
        .size:           4
        .value_kind:     by_value
      - .offset:         12
        .size:           4
        .value_kind:     by_value
      - .address_space:  global
        .offset:         16
        .size:           8
        .value_kind:     global_buffer
      - .offset:         24
        .size:           4
        .value_kind:     hidden_block_count_x
      - .offset:         28
        .size:           4
        .value_kind:     hidden_block_count_y
      - .offset:         32
        .size:           4
        .value_kind:     hidden_block_count_z
      - .offset:         36
        .size:           2
        .value_kind:     hidden_group_size_x
      - .offset:         38
        .size:           2
        .value_kind:     hidden_group_size_y
      - .offset:         40
        .size:           2
        .value_kind:     hidden_group_size_z
      - .offset:         42
        .size:           2
        .value_kind:     hidden_remainder_x
      - .offset:         44
        .size:           2
        .value_kind:     hidden_remainder_y
      - .offset:         46
        .size:           2
        .value_kind:     hidden_remainder_z
      - .offset:         64
        .size:           8
        .value_kind:     hidden_global_offset_x
      - .offset:         72
        .size:           8
        .value_kind:     hidden_global_offset_y
      - .offset:         80
        .size:           8
        .value_kind:     hidden_global_offset_z
      - .offset:         88
        .size:           2
        .value_kind:     hidden_grid_dims
    .group_segment_fixed_size: 0
    .kernarg_segment_align: 8
    .kernarg_segment_size: 280
    .language:       OpenCL C
    .language_version:
      - 2
      - 0
    .max_flat_workgroup_size: 256
    .name:           _ZN7rocprim17ROCPRIM_304000_NS6detail31init_lookback_scan_state_kernelINS1_19lookback_scan_stateIhLb1ELb1EEEEEvT_jjPNS5_10value_typeE
    .private_segment_fixed_size: 0
    .sgpr_count:     18
    .sgpr_spill_count: 0
    .symbol:         _ZN7rocprim17ROCPRIM_304000_NS6detail31init_lookback_scan_state_kernelINS1_19lookback_scan_stateIhLb1ELb1EEEEEvT_jjPNS5_10value_typeE.kd
    .uniform_work_group_size: 1
    .uses_dynamic_stack: false
    .vgpr_count:     6
    .vgpr_spill_count: 0
    .wavefront_size: 32
    .workgroup_processor_mode: 1
  - .args:
      - .address_space:  global
        .offset:         0
        .size:           8
        .value_kind:     global_buffer
      - .offset:         8
        .size:           4
        .value_kind:     by_value
      - .offset:         12
        .size:           4
        .value_kind:     by_value
      - .address_space:  global
        .offset:         16
        .size:           8
        .value_kind:     global_buffer
      - .offset:         24
        .size:           4
        .value_kind:     hidden_block_count_x
      - .offset:         28
        .size:           4
        .value_kind:     hidden_block_count_y
      - .offset:         32
        .size:           4
        .value_kind:     hidden_block_count_z
      - .offset:         36
        .size:           2
        .value_kind:     hidden_group_size_x
      - .offset:         38
        .size:           2
        .value_kind:     hidden_group_size_y
      - .offset:         40
        .size:           2
        .value_kind:     hidden_group_size_z
      - .offset:         42
        .size:           2
        .value_kind:     hidden_remainder_x
      - .offset:         44
        .size:           2
        .value_kind:     hidden_remainder_y
      - .offset:         46
        .size:           2
        .value_kind:     hidden_remainder_z
      - .offset:         64
        .size:           8
        .value_kind:     hidden_global_offset_x
      - .offset:         72
        .size:           8
        .value_kind:     hidden_global_offset_y
      - .offset:         80
        .size:           8
        .value_kind:     hidden_global_offset_z
      - .offset:         88
        .size:           2
        .value_kind:     hidden_grid_dims
    .group_segment_fixed_size: 0
    .kernarg_segment_align: 8
    .kernarg_segment_size: 280
    .language:       OpenCL C
    .language_version:
      - 2
      - 0
    .max_flat_workgroup_size: 256
    .name:           _ZN7rocprim17ROCPRIM_304000_NS6detail31init_lookback_scan_state_kernelINS1_19lookback_scan_stateIhLb0ELb1EEEEEvT_jjPNS5_10value_typeE
    .private_segment_fixed_size: 0
    .sgpr_count:     18
    .sgpr_spill_count: 0
    .symbol:         _ZN7rocprim17ROCPRIM_304000_NS6detail31init_lookback_scan_state_kernelINS1_19lookback_scan_stateIhLb0ELb1EEEEEvT_jjPNS5_10value_typeE.kd
    .uniform_work_group_size: 1
    .uses_dynamic_stack: false
    .vgpr_count:     6
    .vgpr_spill_count: 0
    .wavefront_size: 32
    .workgroup_processor_mode: 1
  - .args:
      - .address_space:  global
        .offset:         0
        .size:           8
        .value_kind:     global_buffer
      - .address_space:  global
        .offset:         8
        .size:           8
        .value_kind:     global_buffer
      - .offset:         16
        .size:           8
        .value_kind:     by_value
      - .offset:         24
        .size:           1
        .value_kind:     by_value
      - .offset:         25
        .size:           1
        .value_kind:     by_value
      - .address_space:  global
        .offset:         32
        .size:           8
        .value_kind:     global_buffer
      - .offset:         40
        .size:           4
        .value_kind:     by_value
      - .address_space:  global
        .offset:         48
        .size:           8
        .value_kind:     global_buffer
      - .address_space:  global
        .offset:         56
        .size:           8
        .value_kind:     global_buffer
      - .offset:         64
        .size:           1
        .value_kind:     by_value
      - .offset:         65
        .size:           1
        .value_kind:     by_value
    .group_segment_fixed_size: 0
    .kernarg_segment_align: 8
    .kernarg_segment_size: 68
    .language:       OpenCL C
    .language_version:
      - 2
      - 0
    .max_flat_workgroup_size: 256
    .name:           _ZN7rocprim17ROCPRIM_304000_NS6detail20lookback_scan_kernelILNS1_25lookback_scan_determinismE0ELb0ENS1_19wrapped_scan_configINS0_14default_configEhEEPKhPhSt10multipliesIhEhhNS1_19lookback_scan_stateIhLb1ELb1EEEEEvT2_T3_mT5_T4_T7_jPT6_SK_bb
    .private_segment_fixed_size: 0
    .sgpr_count:     0
    .sgpr_spill_count: 0
    .symbol:         _ZN7rocprim17ROCPRIM_304000_NS6detail20lookback_scan_kernelILNS1_25lookback_scan_determinismE0ELb0ENS1_19wrapped_scan_configINS0_14default_configEhEEPKhPhSt10multipliesIhEhhNS1_19lookback_scan_stateIhLb1ELb1EEEEEvT2_T3_mT5_T4_T7_jPT6_SK_bb.kd
    .uniform_work_group_size: 1
    .uses_dynamic_stack: false
    .vgpr_count:     0
    .vgpr_spill_count: 0
    .wavefront_size: 32
    .workgroup_processor_mode: 1
  - .args:
      - .address_space:  global
        .offset:         0
        .size:           8
        .value_kind:     global_buffer
      - .address_space:  global
        .offset:         8
        .size:           8
        .value_kind:     global_buffer
      - .offset:         16
        .size:           8
        .value_kind:     by_value
      - .offset:         24
        .size:           1
        .value_kind:     by_value
      - .offset:         25
        .size:           1
        .value_kind:     by_value
      - .address_space:  global
        .offset:         32
        .size:           8
        .value_kind:     global_buffer
      - .offset:         40
        .size:           4
        .value_kind:     by_value
      - .address_space:  global
        .offset:         48
        .size:           8
        .value_kind:     global_buffer
      - .address_space:  global
        .offset:         56
        .size:           8
        .value_kind:     global_buffer
      - .offset:         64
        .size:           1
        .value_kind:     by_value
      - .offset:         65
        .size:           1
        .value_kind:     by_value
    .group_segment_fixed_size: 6144
    .kernarg_segment_align: 8
    .kernarg_segment_size: 68
    .language:       OpenCL C
    .language_version:
      - 2
      - 0
    .max_flat_workgroup_size: 256
    .name:           _ZN7rocprim17ROCPRIM_304000_NS6detail20lookback_scan_kernelILNS1_25lookback_scan_determinismE0ELb0ENS1_19wrapped_scan_configINS0_14default_configEhEEPKhPhSt10multipliesIhEhhNS1_19lookback_scan_stateIhLb0ELb1EEEEEvT2_T3_mT5_T4_T7_jPT6_SK_bb
    .private_segment_fixed_size: 0
    .sgpr_count:     19
    .sgpr_spill_count: 0
    .symbol:         _ZN7rocprim17ROCPRIM_304000_NS6detail20lookback_scan_kernelILNS1_25lookback_scan_determinismE0ELb0ENS1_19wrapped_scan_configINS0_14default_configEhEEPKhPhSt10multipliesIhEhhNS1_19lookback_scan_stateIhLb0ELb1EEEEEvT2_T3_mT5_T4_T7_jPT6_SK_bb.kd
    .uniform_work_group_size: 1
    .uses_dynamic_stack: false
    .vgpr_count:     53
    .vgpr_spill_count: 0
    .wavefront_size: 32
    .workgroup_processor_mode: 1
  - .args:
      - .address_space:  global
        .offset:         0
        .size:           8
        .value_kind:     global_buffer
      - .offset:         8
        .size:           8
        .value_kind:     by_value
      - .address_space:  global
        .offset:         16
        .size:           8
        .value_kind:     global_buffer
      - .offset:         24
        .size:           1
        .value_kind:     by_value
      - .offset:         32
        .size:           4
        .value_kind:     hidden_block_count_x
      - .offset:         36
        .size:           4
        .value_kind:     hidden_block_count_y
      - .offset:         40
        .size:           4
        .value_kind:     hidden_block_count_z
      - .offset:         44
        .size:           2
        .value_kind:     hidden_group_size_x
      - .offset:         46
        .size:           2
        .value_kind:     hidden_group_size_y
      - .offset:         48
        .size:           2
        .value_kind:     hidden_group_size_z
      - .offset:         50
        .size:           2
        .value_kind:     hidden_remainder_x
      - .offset:         52
        .size:           2
        .value_kind:     hidden_remainder_y
      - .offset:         54
        .size:           2
        .value_kind:     hidden_remainder_z
      - .offset:         72
        .size:           8
        .value_kind:     hidden_global_offset_x
      - .offset:         80
        .size:           8
        .value_kind:     hidden_global_offset_y
      - .offset:         88
        .size:           8
        .value_kind:     hidden_global_offset_z
      - .offset:         96
        .size:           2
        .value_kind:     hidden_grid_dims
    .group_segment_fixed_size: 0
    .kernarg_segment_align: 8
    .kernarg_segment_size: 288
    .language:       OpenCL C
    .language_version:
      - 2
      - 0
    .max_flat_workgroup_size: 1024
    .name:           _ZN7rocprim17ROCPRIM_304000_NS6detail16transform_kernelINS1_24wrapped_transform_configINS0_14default_configEhEEhPhS6_NS0_8identityIhEEEEvT1_mT2_T3_
    .private_segment_fixed_size: 0
    .sgpr_count:     18
    .sgpr_spill_count: 0
    .symbol:         _ZN7rocprim17ROCPRIM_304000_NS6detail16transform_kernelINS1_24wrapped_transform_configINS0_14default_configEhEEhPhS6_NS0_8identityIhEEEEvT1_mT2_T3_.kd
    .uniform_work_group_size: 1
    .uses_dynamic_stack: false
    .vgpr_count:     9
    .vgpr_spill_count: 0
    .wavefront_size: 32
    .workgroup_processor_mode: 1
  - .args:
      - .address_space:  global
        .offset:         0
        .size:           8
        .value_kind:     global_buffer
      - .offset:         8
        .size:           8
        .value_kind:     by_value
      - .offset:         16
        .size:           1
        .value_kind:     by_value
      - .address_space:  global
        .offset:         24
        .size:           8
        .value_kind:     global_buffer
      - .offset:         32
        .size:           1
        .value_kind:     by_value
    .group_segment_fixed_size: 6144
    .kernarg_segment_align: 8
    .kernarg_segment_size: 36
    .language:       OpenCL C
    .language_version:
      - 2
      - 0
    .max_flat_workgroup_size: 256
    .name:           _ZN7rocprim17ROCPRIM_304000_NS6detail18single_scan_kernelILb0ENS1_19wrapped_scan_configINS0_14default_configEhEEPKhPhSt10multipliesIhEhhEEvT1_mT4_T2_T3_
    .private_segment_fixed_size: 0
    .sgpr_count:     30
    .sgpr_spill_count: 0
    .symbol:         _ZN7rocprim17ROCPRIM_304000_NS6detail18single_scan_kernelILb0ENS1_19wrapped_scan_configINS0_14default_configEhEEPKhPhSt10multipliesIhEhhEEvT1_mT4_T2_T3_.kd
    .uniform_work_group_size: 1
    .uses_dynamic_stack: false
    .vgpr_count:     33
    .vgpr_spill_count: 0
    .wavefront_size: 32
    .workgroup_processor_mode: 1
  - .args:
      - .address_space:  global
        .offset:         0
        .size:           8
        .value_kind:     global_buffer
      - .address_space:  global
        .offset:         8
        .size:           8
        .value_kind:     global_buffer
      - .offset:         16
        .size:           4
        .value_kind:     by_value
      - .offset:         20
        .size:           4
        .value_kind:     by_value
      - .offset:         24
        .size:           4
        .value_kind:     by_value
      - .offset:         28
        .size:           1
        .value_kind:     by_value
      - .offset:         29
        .size:           1
        .value_kind:     by_value
      - .offset:         32
        .size:           4
        .value_kind:     hidden_block_count_x
      - .offset:         36
        .size:           4
        .value_kind:     hidden_block_count_y
      - .offset:         40
        .size:           4
        .value_kind:     hidden_block_count_z
      - .offset:         44
        .size:           2
        .value_kind:     hidden_group_size_x
      - .offset:         46
        .size:           2
        .value_kind:     hidden_group_size_y
      - .offset:         48
        .size:           2
        .value_kind:     hidden_group_size_z
      - .offset:         50
        .size:           2
        .value_kind:     hidden_remainder_x
      - .offset:         52
        .size:           2
        .value_kind:     hidden_remainder_y
      - .offset:         54
        .size:           2
        .value_kind:     hidden_remainder_z
      - .offset:         72
        .size:           8
        .value_kind:     hidden_global_offset_x
      - .offset:         80
        .size:           8
        .value_kind:     hidden_global_offset_y
      - .offset:         88
        .size:           8
        .value_kind:     hidden_global_offset_z
      - .offset:         96
        .size:           2
        .value_kind:     hidden_grid_dims
      - .offset:         152
        .size:           4
        .value_kind:     hidden_dynamic_lds_size
    .group_segment_fixed_size: 0
    .kernarg_segment_align: 8
    .kernarg_segment_size: 288
    .language:       OpenCL C
    .language_version:
      - 2
      - 0
    .max_flat_workgroup_size: 1024
    .name:           _ZN2at6native32tensor_kernel_scan_innermost_dimIhSt10multipliesIhEEEvPT_PKS4_jjjS4_T0_
    .private_segment_fixed_size: 0
    .sgpr_count:     28
    .sgpr_spill_count: 0
    .symbol:         _ZN2at6native32tensor_kernel_scan_innermost_dimIhSt10multipliesIhEEEvPT_PKS4_jjjS4_T0_.kd
    .uniform_work_group_size: 1
    .uses_dynamic_stack: false
    .vgpr_count:     20
    .vgpr_spill_count: 0
    .wavefront_size: 32
    .workgroup_processor_mode: 1
  - .args:
      - .address_space:  global
        .offset:         0
        .size:           8
        .value_kind:     global_buffer
      - .address_space:  global
        .offset:         8
        .size:           8
        .value_kind:     global_buffer
      - .offset:         16
        .size:           4
        .value_kind:     by_value
      - .offset:         20
        .size:           4
        .value_kind:     by_value
      - .offset:         24
        .size:           4
        .value_kind:     by_value
      - .offset:         28
        .size:           1
        .value_kind:     by_value
      - .offset:         29
        .size:           1
        .value_kind:     by_value
      - .offset:         32
        .size:           4
        .value_kind:     hidden_block_count_x
      - .offset:         36
        .size:           4
        .value_kind:     hidden_block_count_y
      - .offset:         40
        .size:           4
        .value_kind:     hidden_block_count_z
      - .offset:         44
        .size:           2
        .value_kind:     hidden_group_size_x
      - .offset:         46
        .size:           2
        .value_kind:     hidden_group_size_y
      - .offset:         48
        .size:           2
        .value_kind:     hidden_group_size_z
      - .offset:         50
        .size:           2
        .value_kind:     hidden_remainder_x
      - .offset:         52
        .size:           2
        .value_kind:     hidden_remainder_y
      - .offset:         54
        .size:           2
        .value_kind:     hidden_remainder_z
      - .offset:         72
        .size:           8
        .value_kind:     hidden_global_offset_x
      - .offset:         80
        .size:           8
        .value_kind:     hidden_global_offset_y
      - .offset:         88
        .size:           8
        .value_kind:     hidden_global_offset_z
      - .offset:         96
        .size:           2
        .value_kind:     hidden_grid_dims
    .group_segment_fixed_size: 0
    .kernarg_segment_align: 8
    .kernarg_segment_size: 288
    .language:       OpenCL C
    .language_version:
      - 2
      - 0
    .max_flat_workgroup_size: 1024
    .name:           _ZN2at6native28tensor_kernel_scan_outer_dimIhjSt10multipliesIhEEEvPT_PKS4_jjjS4_T1_
    .private_segment_fixed_size: 0
    .sgpr_count:     24
    .sgpr_spill_count: 0
    .symbol:         _ZN2at6native28tensor_kernel_scan_outer_dimIhjSt10multipliesIhEEEvPT_PKS4_jjjS4_T1_.kd
    .uniform_work_group_size: 1
    .uses_dynamic_stack: false
    .vgpr_count:     8
    .vgpr_spill_count: 0
    .wavefront_size: 32
    .workgroup_processor_mode: 1
  - .args:
      - .address_space:  global
        .offset:         0
        .size:           8
        .value_kind:     global_buffer
      - .address_space:  global
        .offset:         8
        .size:           8
        .value_kind:     global_buffer
      - .offset:         16
        .size:           4
        .value_kind:     by_value
      - .offset:         20
        .size:           4
        .value_kind:     by_value
      - .offset:         24
        .size:           4
        .value_kind:     by_value
      - .offset:         28
        .size:           1
        .value_kind:     by_value
      - .offset:         29
        .size:           1
        .value_kind:     by_value
      - .offset:         32
        .size:           4
        .value_kind:     hidden_block_count_x
      - .offset:         36
        .size:           4
        .value_kind:     hidden_block_count_y
      - .offset:         40
        .size:           4
        .value_kind:     hidden_block_count_z
      - .offset:         44
        .size:           2
        .value_kind:     hidden_group_size_x
      - .offset:         46
        .size:           2
        .value_kind:     hidden_group_size_y
      - .offset:         48
        .size:           2
        .value_kind:     hidden_group_size_z
      - .offset:         50
        .size:           2
        .value_kind:     hidden_remainder_x
      - .offset:         52
        .size:           2
        .value_kind:     hidden_remainder_y
      - .offset:         54
        .size:           2
        .value_kind:     hidden_remainder_z
      - .offset:         72
        .size:           8
        .value_kind:     hidden_global_offset_x
      - .offset:         80
        .size:           8
        .value_kind:     hidden_global_offset_y
      - .offset:         88
        .size:           8
        .value_kind:     hidden_global_offset_z
      - .offset:         96
        .size:           2
        .value_kind:     hidden_grid_dims
    .group_segment_fixed_size: 0
    .kernarg_segment_align: 8
    .kernarg_segment_size: 288
    .language:       OpenCL C
    .language_version:
      - 2
      - 0
    .max_flat_workgroup_size: 1024
    .name:           _ZN2at6native28tensor_kernel_scan_outer_dimIhmSt10multipliesIhEEEvPT_PKS4_jjjS4_T1_
    .private_segment_fixed_size: 0
    .sgpr_count:     26
    .sgpr_spill_count: 0
    .symbol:         _ZN2at6native28tensor_kernel_scan_outer_dimIhmSt10multipliesIhEEEvPT_PKS4_jjjS4_T1_.kd
    .uniform_work_group_size: 1
    .uses_dynamic_stack: false
    .vgpr_count:     8
    .vgpr_spill_count: 0
    .wavefront_size: 32
    .workgroup_processor_mode: 1
  - .args:
      - .address_space:  global
        .offset:         0
        .size:           8
        .value_kind:     global_buffer
      - .offset:         8
        .size:           4
        .value_kind:     by_value
      - .offset:         12
        .size:           4
        .value_kind:     by_value
      - .address_space:  global
        .offset:         16
        .size:           8
        .value_kind:     global_buffer
      - .offset:         24
        .size:           4
        .value_kind:     hidden_block_count_x
      - .offset:         28
        .size:           4
        .value_kind:     hidden_block_count_y
      - .offset:         32
        .size:           4
        .value_kind:     hidden_block_count_z
      - .offset:         36
        .size:           2
        .value_kind:     hidden_group_size_x
      - .offset:         38
        .size:           2
        .value_kind:     hidden_group_size_y
      - .offset:         40
        .size:           2
        .value_kind:     hidden_group_size_z
      - .offset:         42
        .size:           2
        .value_kind:     hidden_remainder_x
      - .offset:         44
        .size:           2
        .value_kind:     hidden_remainder_y
      - .offset:         46
        .size:           2
        .value_kind:     hidden_remainder_z
      - .offset:         64
        .size:           8
        .value_kind:     hidden_global_offset_x
      - .offset:         72
        .size:           8
        .value_kind:     hidden_global_offset_y
      - .offset:         80
        .size:           8
        .value_kind:     hidden_global_offset_z
      - .offset:         88
        .size:           2
        .value_kind:     hidden_grid_dims
    .group_segment_fixed_size: 0
    .kernarg_segment_align: 8
    .kernarg_segment_size: 280
    .language:       OpenCL C
    .language_version:
      - 2
      - 0
    .max_flat_workgroup_size: 256
    .name:           _ZN7rocprim17ROCPRIM_304000_NS6detail31init_lookback_scan_state_kernelINS1_19lookback_scan_stateIaLb1ELb1EEEEEvT_jjPNS5_10value_typeE
    .private_segment_fixed_size: 0
    .sgpr_count:     18
    .sgpr_spill_count: 0
    .symbol:         _ZN7rocprim17ROCPRIM_304000_NS6detail31init_lookback_scan_state_kernelINS1_19lookback_scan_stateIaLb1ELb1EEEEEvT_jjPNS5_10value_typeE.kd
    .uniform_work_group_size: 1
    .uses_dynamic_stack: false
    .vgpr_count:     6
    .vgpr_spill_count: 0
    .wavefront_size: 32
    .workgroup_processor_mode: 1
  - .args:
      - .address_space:  global
        .offset:         0
        .size:           8
        .value_kind:     global_buffer
      - .offset:         8
        .size:           4
        .value_kind:     by_value
      - .offset:         12
        .size:           4
        .value_kind:     by_value
      - .address_space:  global
        .offset:         16
        .size:           8
        .value_kind:     global_buffer
      - .offset:         24
        .size:           4
        .value_kind:     hidden_block_count_x
      - .offset:         28
        .size:           4
        .value_kind:     hidden_block_count_y
      - .offset:         32
        .size:           4
        .value_kind:     hidden_block_count_z
      - .offset:         36
        .size:           2
        .value_kind:     hidden_group_size_x
      - .offset:         38
        .size:           2
        .value_kind:     hidden_group_size_y
      - .offset:         40
        .size:           2
        .value_kind:     hidden_group_size_z
      - .offset:         42
        .size:           2
        .value_kind:     hidden_remainder_x
      - .offset:         44
        .size:           2
        .value_kind:     hidden_remainder_y
      - .offset:         46
        .size:           2
        .value_kind:     hidden_remainder_z
      - .offset:         64
        .size:           8
        .value_kind:     hidden_global_offset_x
      - .offset:         72
        .size:           8
        .value_kind:     hidden_global_offset_y
      - .offset:         80
        .size:           8
        .value_kind:     hidden_global_offset_z
      - .offset:         88
        .size:           2
        .value_kind:     hidden_grid_dims
    .group_segment_fixed_size: 0
    .kernarg_segment_align: 8
    .kernarg_segment_size: 280
    .language:       OpenCL C
    .language_version:
      - 2
      - 0
    .max_flat_workgroup_size: 256
    .name:           _ZN7rocprim17ROCPRIM_304000_NS6detail31init_lookback_scan_state_kernelINS1_19lookback_scan_stateIaLb0ELb1EEEEEvT_jjPNS5_10value_typeE
    .private_segment_fixed_size: 0
    .sgpr_count:     18
    .sgpr_spill_count: 0
    .symbol:         _ZN7rocprim17ROCPRIM_304000_NS6detail31init_lookback_scan_state_kernelINS1_19lookback_scan_stateIaLb0ELb1EEEEEvT_jjPNS5_10value_typeE.kd
    .uniform_work_group_size: 1
    .uses_dynamic_stack: false
    .vgpr_count:     6
    .vgpr_spill_count: 0
    .wavefront_size: 32
    .workgroup_processor_mode: 1
  - .args:
      - .address_space:  global
        .offset:         0
        .size:           8
        .value_kind:     global_buffer
      - .address_space:  global
        .offset:         8
        .size:           8
        .value_kind:     global_buffer
      - .offset:         16
        .size:           8
        .value_kind:     by_value
      - .offset:         24
        .size:           1
        .value_kind:     by_value
      - .offset:         25
        .size:           1
        .value_kind:     by_value
      - .address_space:  global
        .offset:         32
        .size:           8
        .value_kind:     global_buffer
      - .offset:         40
        .size:           4
        .value_kind:     by_value
      - .address_space:  global
        .offset:         48
        .size:           8
        .value_kind:     global_buffer
      - .address_space:  global
        .offset:         56
        .size:           8
        .value_kind:     global_buffer
      - .offset:         64
        .size:           1
        .value_kind:     by_value
      - .offset:         65
        .size:           1
        .value_kind:     by_value
    .group_segment_fixed_size: 0
    .kernarg_segment_align: 8
    .kernarg_segment_size: 68
    .language:       OpenCL C
    .language_version:
      - 2
      - 0
    .max_flat_workgroup_size: 256
    .name:           _ZN7rocprim17ROCPRIM_304000_NS6detail20lookback_scan_kernelILNS1_25lookback_scan_determinismE0ELb0ENS1_19wrapped_scan_configINS0_14default_configEaEEPKaPaSt10multipliesIaEaaNS1_19lookback_scan_stateIaLb1ELb1EEEEEvT2_T3_mT5_T4_T7_jPT6_SK_bb
    .private_segment_fixed_size: 0
    .sgpr_count:     0
    .sgpr_spill_count: 0
    .symbol:         _ZN7rocprim17ROCPRIM_304000_NS6detail20lookback_scan_kernelILNS1_25lookback_scan_determinismE0ELb0ENS1_19wrapped_scan_configINS0_14default_configEaEEPKaPaSt10multipliesIaEaaNS1_19lookback_scan_stateIaLb1ELb1EEEEEvT2_T3_mT5_T4_T7_jPT6_SK_bb.kd
    .uniform_work_group_size: 1
    .uses_dynamic_stack: false
    .vgpr_count:     0
    .vgpr_spill_count: 0
    .wavefront_size: 32
    .workgroup_processor_mode: 1
  - .args:
      - .address_space:  global
        .offset:         0
        .size:           8
        .value_kind:     global_buffer
      - .address_space:  global
        .offset:         8
        .size:           8
        .value_kind:     global_buffer
      - .offset:         16
        .size:           8
        .value_kind:     by_value
      - .offset:         24
        .size:           1
        .value_kind:     by_value
      - .offset:         25
        .size:           1
        .value_kind:     by_value
      - .address_space:  global
        .offset:         32
        .size:           8
        .value_kind:     global_buffer
      - .offset:         40
        .size:           4
        .value_kind:     by_value
      - .address_space:  global
        .offset:         48
        .size:           8
        .value_kind:     global_buffer
      - .address_space:  global
        .offset:         56
        .size:           8
        .value_kind:     global_buffer
      - .offset:         64
        .size:           1
        .value_kind:     by_value
      - .offset:         65
        .size:           1
        .value_kind:     by_value
    .group_segment_fixed_size: 6144
    .kernarg_segment_align: 8
    .kernarg_segment_size: 68
    .language:       OpenCL C
    .language_version:
      - 2
      - 0
    .max_flat_workgroup_size: 256
    .name:           _ZN7rocprim17ROCPRIM_304000_NS6detail20lookback_scan_kernelILNS1_25lookback_scan_determinismE0ELb0ENS1_19wrapped_scan_configINS0_14default_configEaEEPKaPaSt10multipliesIaEaaNS1_19lookback_scan_stateIaLb0ELb1EEEEEvT2_T3_mT5_T4_T7_jPT6_SK_bb
    .private_segment_fixed_size: 0
    .sgpr_count:     19
    .sgpr_spill_count: 0
    .symbol:         _ZN7rocprim17ROCPRIM_304000_NS6detail20lookback_scan_kernelILNS1_25lookback_scan_determinismE0ELb0ENS1_19wrapped_scan_configINS0_14default_configEaEEPKaPaSt10multipliesIaEaaNS1_19lookback_scan_stateIaLb0ELb1EEEEEvT2_T3_mT5_T4_T7_jPT6_SK_bb.kd
    .uniform_work_group_size: 1
    .uses_dynamic_stack: false
    .vgpr_count:     53
    .vgpr_spill_count: 0
    .wavefront_size: 32
    .workgroup_processor_mode: 1
  - .args:
      - .address_space:  global
        .offset:         0
        .size:           8
        .value_kind:     global_buffer
      - .offset:         8
        .size:           8
        .value_kind:     by_value
      - .address_space:  global
        .offset:         16
        .size:           8
        .value_kind:     global_buffer
      - .offset:         24
        .size:           1
        .value_kind:     by_value
      - .offset:         32
        .size:           4
        .value_kind:     hidden_block_count_x
      - .offset:         36
        .size:           4
        .value_kind:     hidden_block_count_y
      - .offset:         40
        .size:           4
        .value_kind:     hidden_block_count_z
      - .offset:         44
        .size:           2
        .value_kind:     hidden_group_size_x
      - .offset:         46
        .size:           2
        .value_kind:     hidden_group_size_y
      - .offset:         48
        .size:           2
        .value_kind:     hidden_group_size_z
      - .offset:         50
        .size:           2
        .value_kind:     hidden_remainder_x
      - .offset:         52
        .size:           2
        .value_kind:     hidden_remainder_y
      - .offset:         54
        .size:           2
        .value_kind:     hidden_remainder_z
      - .offset:         72
        .size:           8
        .value_kind:     hidden_global_offset_x
      - .offset:         80
        .size:           8
        .value_kind:     hidden_global_offset_y
      - .offset:         88
        .size:           8
        .value_kind:     hidden_global_offset_z
      - .offset:         96
        .size:           2
        .value_kind:     hidden_grid_dims
    .group_segment_fixed_size: 0
    .kernarg_segment_align: 8
    .kernarg_segment_size: 288
    .language:       OpenCL C
    .language_version:
      - 2
      - 0
    .max_flat_workgroup_size: 1024
    .name:           _ZN7rocprim17ROCPRIM_304000_NS6detail16transform_kernelINS1_24wrapped_transform_configINS0_14default_configEaEEaPaS6_NS0_8identityIaEEEEvT1_mT2_T3_
    .private_segment_fixed_size: 0
    .sgpr_count:     18
    .sgpr_spill_count: 0
    .symbol:         _ZN7rocprim17ROCPRIM_304000_NS6detail16transform_kernelINS1_24wrapped_transform_configINS0_14default_configEaEEaPaS6_NS0_8identityIaEEEEvT1_mT2_T3_.kd
    .uniform_work_group_size: 1
    .uses_dynamic_stack: false
    .vgpr_count:     9
    .vgpr_spill_count: 0
    .wavefront_size: 32
    .workgroup_processor_mode: 1
  - .args:
      - .address_space:  global
        .offset:         0
        .size:           8
        .value_kind:     global_buffer
      - .offset:         8
        .size:           8
        .value_kind:     by_value
      - .offset:         16
        .size:           1
        .value_kind:     by_value
      - .address_space:  global
        .offset:         24
        .size:           8
        .value_kind:     global_buffer
      - .offset:         32
        .size:           1
        .value_kind:     by_value
    .group_segment_fixed_size: 6144
    .kernarg_segment_align: 8
    .kernarg_segment_size: 36
    .language:       OpenCL C
    .language_version:
      - 2
      - 0
    .max_flat_workgroup_size: 256
    .name:           _ZN7rocprim17ROCPRIM_304000_NS6detail18single_scan_kernelILb0ENS1_19wrapped_scan_configINS0_14default_configEaEEPKaPaSt10multipliesIaEaaEEvT1_mT4_T2_T3_
    .private_segment_fixed_size: 0
    .sgpr_count:     30
    .sgpr_spill_count: 0
    .symbol:         _ZN7rocprim17ROCPRIM_304000_NS6detail18single_scan_kernelILb0ENS1_19wrapped_scan_configINS0_14default_configEaEEPKaPaSt10multipliesIaEaaEEvT1_mT4_T2_T3_.kd
    .uniform_work_group_size: 1
    .uses_dynamic_stack: false
    .vgpr_count:     33
    .vgpr_spill_count: 0
    .wavefront_size: 32
    .workgroup_processor_mode: 1
  - .args:
      - .address_space:  global
        .offset:         0
        .size:           8
        .value_kind:     global_buffer
      - .address_space:  global
        .offset:         8
        .size:           8
        .value_kind:     global_buffer
      - .offset:         16
        .size:           4
        .value_kind:     by_value
      - .offset:         20
        .size:           4
        .value_kind:     by_value
      - .offset:         24
        .size:           4
        .value_kind:     by_value
      - .offset:         28
        .size:           1
        .value_kind:     by_value
      - .offset:         29
        .size:           1
        .value_kind:     by_value
      - .offset:         32
        .size:           4
        .value_kind:     hidden_block_count_x
      - .offset:         36
        .size:           4
        .value_kind:     hidden_block_count_y
      - .offset:         40
        .size:           4
        .value_kind:     hidden_block_count_z
      - .offset:         44
        .size:           2
        .value_kind:     hidden_group_size_x
      - .offset:         46
        .size:           2
        .value_kind:     hidden_group_size_y
      - .offset:         48
        .size:           2
        .value_kind:     hidden_group_size_z
      - .offset:         50
        .size:           2
        .value_kind:     hidden_remainder_x
      - .offset:         52
        .size:           2
        .value_kind:     hidden_remainder_y
      - .offset:         54
        .size:           2
        .value_kind:     hidden_remainder_z
      - .offset:         72
        .size:           8
        .value_kind:     hidden_global_offset_x
      - .offset:         80
        .size:           8
        .value_kind:     hidden_global_offset_y
      - .offset:         88
        .size:           8
        .value_kind:     hidden_global_offset_z
      - .offset:         96
        .size:           2
        .value_kind:     hidden_grid_dims
      - .offset:         152
        .size:           4
        .value_kind:     hidden_dynamic_lds_size
    .group_segment_fixed_size: 0
    .kernarg_segment_align: 8
    .kernarg_segment_size: 288
    .language:       OpenCL C
    .language_version:
      - 2
      - 0
    .max_flat_workgroup_size: 1024
    .name:           _ZN2at6native32tensor_kernel_scan_innermost_dimIaSt10multipliesIaEEEvPT_PKS4_jjjS4_T0_
    .private_segment_fixed_size: 0
    .sgpr_count:     28
    .sgpr_spill_count: 0
    .symbol:         _ZN2at6native32tensor_kernel_scan_innermost_dimIaSt10multipliesIaEEEvPT_PKS4_jjjS4_T0_.kd
    .uniform_work_group_size: 1
    .uses_dynamic_stack: false
    .vgpr_count:     20
    .vgpr_spill_count: 0
    .wavefront_size: 32
    .workgroup_processor_mode: 1
  - .args:
      - .address_space:  global
        .offset:         0
        .size:           8
        .value_kind:     global_buffer
      - .address_space:  global
        .offset:         8
        .size:           8
        .value_kind:     global_buffer
      - .offset:         16
        .size:           4
        .value_kind:     by_value
      - .offset:         20
        .size:           4
        .value_kind:     by_value
      - .offset:         24
        .size:           4
        .value_kind:     by_value
      - .offset:         28
        .size:           1
        .value_kind:     by_value
      - .offset:         29
        .size:           1
        .value_kind:     by_value
      - .offset:         32
        .size:           4
        .value_kind:     hidden_block_count_x
      - .offset:         36
        .size:           4
        .value_kind:     hidden_block_count_y
      - .offset:         40
        .size:           4
        .value_kind:     hidden_block_count_z
      - .offset:         44
        .size:           2
        .value_kind:     hidden_group_size_x
      - .offset:         46
        .size:           2
        .value_kind:     hidden_group_size_y
      - .offset:         48
        .size:           2
        .value_kind:     hidden_group_size_z
      - .offset:         50
        .size:           2
        .value_kind:     hidden_remainder_x
      - .offset:         52
        .size:           2
        .value_kind:     hidden_remainder_y
      - .offset:         54
        .size:           2
        .value_kind:     hidden_remainder_z
      - .offset:         72
        .size:           8
        .value_kind:     hidden_global_offset_x
      - .offset:         80
        .size:           8
        .value_kind:     hidden_global_offset_y
      - .offset:         88
        .size:           8
        .value_kind:     hidden_global_offset_z
      - .offset:         96
        .size:           2
        .value_kind:     hidden_grid_dims
    .group_segment_fixed_size: 0
    .kernarg_segment_align: 8
    .kernarg_segment_size: 288
    .language:       OpenCL C
    .language_version:
      - 2
      - 0
    .max_flat_workgroup_size: 1024
    .name:           _ZN2at6native28tensor_kernel_scan_outer_dimIajSt10multipliesIaEEEvPT_PKS4_jjjS4_T1_
    .private_segment_fixed_size: 0
    .sgpr_count:     24
    .sgpr_spill_count: 0
    .symbol:         _ZN2at6native28tensor_kernel_scan_outer_dimIajSt10multipliesIaEEEvPT_PKS4_jjjS4_T1_.kd
    .uniform_work_group_size: 1
    .uses_dynamic_stack: false
    .vgpr_count:     8
    .vgpr_spill_count: 0
    .wavefront_size: 32
    .workgroup_processor_mode: 1
  - .args:
      - .address_space:  global
        .offset:         0
        .size:           8
        .value_kind:     global_buffer
      - .address_space:  global
        .offset:         8
        .size:           8
        .value_kind:     global_buffer
      - .offset:         16
        .size:           4
        .value_kind:     by_value
      - .offset:         20
        .size:           4
        .value_kind:     by_value
      - .offset:         24
        .size:           4
        .value_kind:     by_value
      - .offset:         28
        .size:           1
        .value_kind:     by_value
      - .offset:         29
        .size:           1
        .value_kind:     by_value
      - .offset:         32
        .size:           4
        .value_kind:     hidden_block_count_x
      - .offset:         36
        .size:           4
        .value_kind:     hidden_block_count_y
      - .offset:         40
        .size:           4
        .value_kind:     hidden_block_count_z
      - .offset:         44
        .size:           2
        .value_kind:     hidden_group_size_x
      - .offset:         46
        .size:           2
        .value_kind:     hidden_group_size_y
      - .offset:         48
        .size:           2
        .value_kind:     hidden_group_size_z
      - .offset:         50
        .size:           2
        .value_kind:     hidden_remainder_x
      - .offset:         52
        .size:           2
        .value_kind:     hidden_remainder_y
      - .offset:         54
        .size:           2
        .value_kind:     hidden_remainder_z
      - .offset:         72
        .size:           8
        .value_kind:     hidden_global_offset_x
      - .offset:         80
        .size:           8
        .value_kind:     hidden_global_offset_y
      - .offset:         88
        .size:           8
        .value_kind:     hidden_global_offset_z
      - .offset:         96
        .size:           2
        .value_kind:     hidden_grid_dims
    .group_segment_fixed_size: 0
    .kernarg_segment_align: 8
    .kernarg_segment_size: 288
    .language:       OpenCL C
    .language_version:
      - 2
      - 0
    .max_flat_workgroup_size: 1024
    .name:           _ZN2at6native28tensor_kernel_scan_outer_dimIamSt10multipliesIaEEEvPT_PKS4_jjjS4_T1_
    .private_segment_fixed_size: 0
    .sgpr_count:     26
    .sgpr_spill_count: 0
    .symbol:         _ZN2at6native28tensor_kernel_scan_outer_dimIamSt10multipliesIaEEEvPT_PKS4_jjjS4_T1_.kd
    .uniform_work_group_size: 1
    .uses_dynamic_stack: false
    .vgpr_count:     8
    .vgpr_spill_count: 0
    .wavefront_size: 32
    .workgroup_processor_mode: 1
  - .args:
      - .address_space:  global
        .offset:         0
        .size:           8
        .value_kind:     global_buffer
      - .offset:         8
        .size:           4
        .value_kind:     by_value
      - .offset:         12
        .size:           4
        .value_kind:     by_value
      - .address_space:  global
        .offset:         16
        .size:           8
        .value_kind:     global_buffer
      - .offset:         24
        .size:           4
        .value_kind:     hidden_block_count_x
      - .offset:         28
        .size:           4
        .value_kind:     hidden_block_count_y
      - .offset:         32
        .size:           4
        .value_kind:     hidden_block_count_z
      - .offset:         36
        .size:           2
        .value_kind:     hidden_group_size_x
      - .offset:         38
        .size:           2
        .value_kind:     hidden_group_size_y
      - .offset:         40
        .size:           2
        .value_kind:     hidden_group_size_z
      - .offset:         42
        .size:           2
        .value_kind:     hidden_remainder_x
      - .offset:         44
        .size:           2
        .value_kind:     hidden_remainder_y
      - .offset:         46
        .size:           2
        .value_kind:     hidden_remainder_z
      - .offset:         64
        .size:           8
        .value_kind:     hidden_global_offset_x
      - .offset:         72
        .size:           8
        .value_kind:     hidden_global_offset_y
      - .offset:         80
        .size:           8
        .value_kind:     hidden_global_offset_z
      - .offset:         88
        .size:           2
        .value_kind:     hidden_grid_dims
    .group_segment_fixed_size: 0
    .kernarg_segment_align: 8
    .kernarg_segment_size: 280
    .language:       OpenCL C
    .language_version:
      - 2
      - 0
    .max_flat_workgroup_size: 256
    .name:           _ZN7rocprim17ROCPRIM_304000_NS6detail31init_lookback_scan_state_kernelINS1_19lookback_scan_stateIiLb1ELb1EEEEEvT_jjPNS5_10value_typeE
    .private_segment_fixed_size: 0
    .sgpr_count:     18
    .sgpr_spill_count: 0
    .symbol:         _ZN7rocprim17ROCPRIM_304000_NS6detail31init_lookback_scan_state_kernelINS1_19lookback_scan_stateIiLb1ELb1EEEEEvT_jjPNS5_10value_typeE.kd
    .uniform_work_group_size: 1
    .uses_dynamic_stack: false
    .vgpr_count:     6
    .vgpr_spill_count: 0
    .wavefront_size: 32
    .workgroup_processor_mode: 1
  - .args:
      - .address_space:  global
        .offset:         0
        .size:           8
        .value_kind:     global_buffer
      - .offset:         8
        .size:           4
        .value_kind:     by_value
      - .offset:         12
        .size:           4
        .value_kind:     by_value
      - .address_space:  global
        .offset:         16
        .size:           8
        .value_kind:     global_buffer
      - .offset:         24
        .size:           4
        .value_kind:     hidden_block_count_x
      - .offset:         28
        .size:           4
        .value_kind:     hidden_block_count_y
      - .offset:         32
        .size:           4
        .value_kind:     hidden_block_count_z
      - .offset:         36
        .size:           2
        .value_kind:     hidden_group_size_x
      - .offset:         38
        .size:           2
        .value_kind:     hidden_group_size_y
      - .offset:         40
        .size:           2
        .value_kind:     hidden_group_size_z
      - .offset:         42
        .size:           2
        .value_kind:     hidden_remainder_x
      - .offset:         44
        .size:           2
        .value_kind:     hidden_remainder_y
      - .offset:         46
        .size:           2
        .value_kind:     hidden_remainder_z
      - .offset:         64
        .size:           8
        .value_kind:     hidden_global_offset_x
      - .offset:         72
        .size:           8
        .value_kind:     hidden_global_offset_y
      - .offset:         80
        .size:           8
        .value_kind:     hidden_global_offset_z
      - .offset:         88
        .size:           2
        .value_kind:     hidden_grid_dims
    .group_segment_fixed_size: 0
    .kernarg_segment_align: 8
    .kernarg_segment_size: 280
    .language:       OpenCL C
    .language_version:
      - 2
      - 0
    .max_flat_workgroup_size: 256
    .name:           _ZN7rocprim17ROCPRIM_304000_NS6detail31init_lookback_scan_state_kernelINS1_19lookback_scan_stateIiLb0ELb1EEEEEvT_jjPNS5_10value_typeE
    .private_segment_fixed_size: 0
    .sgpr_count:     18
    .sgpr_spill_count: 0
    .symbol:         _ZN7rocprim17ROCPRIM_304000_NS6detail31init_lookback_scan_state_kernelINS1_19lookback_scan_stateIiLb0ELb1EEEEEvT_jjPNS5_10value_typeE.kd
    .uniform_work_group_size: 1
    .uses_dynamic_stack: false
    .vgpr_count:     6
    .vgpr_spill_count: 0
    .wavefront_size: 32
    .workgroup_processor_mode: 1
  - .args:
      - .address_space:  global
        .offset:         0
        .size:           8
        .value_kind:     global_buffer
      - .address_space:  global
        .offset:         8
        .size:           8
        .value_kind:     global_buffer
      - .offset:         16
        .size:           8
        .value_kind:     by_value
      - .offset:         24
        .size:           4
        .value_kind:     by_value
      - .offset:         28
        .size:           1
        .value_kind:     by_value
      - .address_space:  global
        .offset:         32
        .size:           8
        .value_kind:     global_buffer
      - .offset:         40
        .size:           4
        .value_kind:     by_value
      - .address_space:  global
        .offset:         48
        .size:           8
        .value_kind:     global_buffer
      - .address_space:  global
        .offset:         56
        .size:           8
        .value_kind:     global_buffer
      - .offset:         64
        .size:           1
        .value_kind:     by_value
      - .offset:         65
        .size:           1
        .value_kind:     by_value
    .group_segment_fixed_size: 0
    .kernarg_segment_align: 8
    .kernarg_segment_size: 68
    .language:       OpenCL C
    .language_version:
      - 2
      - 0
    .max_flat_workgroup_size: 64
    .name:           _ZN7rocprim17ROCPRIM_304000_NS6detail20lookback_scan_kernelILNS1_25lookback_scan_determinismE0ELb0ENS1_19wrapped_scan_configINS0_14default_configEiEEPKiPiSt10multipliesIiEiiNS1_19lookback_scan_stateIiLb1ELb1EEEEEvT2_T3_mT5_T4_T7_jPT6_SK_bb
    .private_segment_fixed_size: 0
    .sgpr_count:     0
    .sgpr_spill_count: 0
    .symbol:         _ZN7rocprim17ROCPRIM_304000_NS6detail20lookback_scan_kernelILNS1_25lookback_scan_determinismE0ELb0ENS1_19wrapped_scan_configINS0_14default_configEiEEPKiPiSt10multipliesIiEiiNS1_19lookback_scan_stateIiLb1ELb1EEEEEvT2_T3_mT5_T4_T7_jPT6_SK_bb.kd
    .uniform_work_group_size: 1
    .uses_dynamic_stack: false
    .vgpr_count:     0
    .vgpr_spill_count: 0
    .wavefront_size: 32
    .workgroup_processor_mode: 1
  - .args:
      - .address_space:  global
        .offset:         0
        .size:           8
        .value_kind:     global_buffer
      - .address_space:  global
        .offset:         8
        .size:           8
        .value_kind:     global_buffer
      - .offset:         16
        .size:           8
        .value_kind:     by_value
      - .offset:         24
        .size:           4
        .value_kind:     by_value
      - .offset:         28
        .size:           1
        .value_kind:     by_value
      - .address_space:  global
        .offset:         32
        .size:           8
        .value_kind:     global_buffer
      - .offset:         40
        .size:           4
        .value_kind:     by_value
      - .address_space:  global
        .offset:         48
        .size:           8
        .value_kind:     global_buffer
      - .address_space:  global
        .offset:         56
        .size:           8
        .value_kind:     global_buffer
      - .offset:         64
        .size:           1
        .value_kind:     by_value
      - .offset:         65
        .size:           1
        .value_kind:     by_value
    .group_segment_fixed_size: 4224
    .kernarg_segment_align: 8
    .kernarg_segment_size: 68
    .language:       OpenCL C
    .language_version:
      - 2
      - 0
    .max_flat_workgroup_size: 64
    .name:           _ZN7rocprim17ROCPRIM_304000_NS6detail20lookback_scan_kernelILNS1_25lookback_scan_determinismE0ELb0ENS1_19wrapped_scan_configINS0_14default_configEiEEPKiPiSt10multipliesIiEiiNS1_19lookback_scan_stateIiLb0ELb1EEEEEvT2_T3_mT5_T4_T7_jPT6_SK_bb
    .private_segment_fixed_size: 0
    .sgpr_count:     37
    .sgpr_spill_count: 0
    .symbol:         _ZN7rocprim17ROCPRIM_304000_NS6detail20lookback_scan_kernelILNS1_25lookback_scan_determinismE0ELb0ENS1_19wrapped_scan_configINS0_14default_configEiEEPKiPiSt10multipliesIiEiiNS1_19lookback_scan_stateIiLb0ELb1EEEEEvT2_T3_mT5_T4_T7_jPT6_SK_bb.kd
    .uniform_work_group_size: 1
    .uses_dynamic_stack: false
    .vgpr_count:     56
    .vgpr_spill_count: 0
    .wavefront_size: 32
    .workgroup_processor_mode: 1
  - .args:
      - .address_space:  global
        .offset:         0
        .size:           8
        .value_kind:     global_buffer
      - .offset:         8
        .size:           8
        .value_kind:     by_value
      - .address_space:  global
        .offset:         16
        .size:           8
        .value_kind:     global_buffer
      - .offset:         24
        .size:           1
        .value_kind:     by_value
      - .offset:         32
        .size:           4
        .value_kind:     hidden_block_count_x
      - .offset:         36
        .size:           4
        .value_kind:     hidden_block_count_y
      - .offset:         40
        .size:           4
        .value_kind:     hidden_block_count_z
      - .offset:         44
        .size:           2
        .value_kind:     hidden_group_size_x
      - .offset:         46
        .size:           2
        .value_kind:     hidden_group_size_y
      - .offset:         48
        .size:           2
        .value_kind:     hidden_group_size_z
      - .offset:         50
        .size:           2
        .value_kind:     hidden_remainder_x
      - .offset:         52
        .size:           2
        .value_kind:     hidden_remainder_y
      - .offset:         54
        .size:           2
        .value_kind:     hidden_remainder_z
      - .offset:         72
        .size:           8
        .value_kind:     hidden_global_offset_x
      - .offset:         80
        .size:           8
        .value_kind:     hidden_global_offset_y
      - .offset:         88
        .size:           8
        .value_kind:     hidden_global_offset_z
      - .offset:         96
        .size:           2
        .value_kind:     hidden_grid_dims
    .group_segment_fixed_size: 0
    .kernarg_segment_align: 8
    .kernarg_segment_size: 288
    .language:       OpenCL C
    .language_version:
      - 2
      - 0
    .max_flat_workgroup_size: 256
    .name:           _ZN7rocprim17ROCPRIM_304000_NS6detail16transform_kernelINS1_24wrapped_transform_configINS0_14default_configEiEEiPiS6_NS0_8identityIiEEEEvT1_mT2_T3_
    .private_segment_fixed_size: 0
    .sgpr_count:     24
    .sgpr_spill_count: 0
    .symbol:         _ZN7rocprim17ROCPRIM_304000_NS6detail16transform_kernelINS1_24wrapped_transform_configINS0_14default_configEiEEiPiS6_NS0_8identityIiEEEEvT1_mT2_T3_.kd
    .uniform_work_group_size: 1
    .uses_dynamic_stack: false
    .vgpr_count:     28
    .vgpr_spill_count: 0
    .wavefront_size: 32
    .workgroup_processor_mode: 1
  - .args:
      - .address_space:  global
        .offset:         0
        .size:           8
        .value_kind:     global_buffer
      - .offset:         8
        .size:           8
        .value_kind:     by_value
      - .offset:         16
        .size:           4
        .value_kind:     by_value
      - .address_space:  global
        .offset:         24
        .size:           8
        .value_kind:     global_buffer
      - .offset:         32
        .size:           1
        .value_kind:     by_value
    .group_segment_fixed_size: 4224
    .kernarg_segment_align: 8
    .kernarg_segment_size: 36
    .language:       OpenCL C
    .language_version:
      - 2
      - 0
    .max_flat_workgroup_size: 64
    .name:           _ZN7rocprim17ROCPRIM_304000_NS6detail18single_scan_kernelILb0ENS1_19wrapped_scan_configINS0_14default_configEiEEPKiPiSt10multipliesIiEiiEEvT1_mT4_T2_T3_
    .private_segment_fixed_size: 0
    .sgpr_count:     26
    .sgpr_spill_count: 0
    .symbol:         _ZN7rocprim17ROCPRIM_304000_NS6detail18single_scan_kernelILb0ENS1_19wrapped_scan_configINS0_14default_configEiEEPKiPiSt10multipliesIiEiiEEvT1_mT4_T2_T3_.kd
    .uniform_work_group_size: 1
    .uses_dynamic_stack: false
    .vgpr_count:     44
    .vgpr_spill_count: 0
    .wavefront_size: 32
    .workgroup_processor_mode: 1
  - .args:
      - .address_space:  global
        .offset:         0
        .size:           8
        .value_kind:     global_buffer
      - .address_space:  global
        .offset:         8
        .size:           8
        .value_kind:     global_buffer
      - .offset:         16
        .size:           4
        .value_kind:     by_value
      - .offset:         20
        .size:           4
        .value_kind:     by_value
      - .offset:         24
        .size:           4
        .value_kind:     by_value
      - .offset:         28
        .size:           4
        .value_kind:     by_value
      - .offset:         32
        .size:           1
        .value_kind:     by_value
      - .offset:         40
        .size:           4
        .value_kind:     hidden_block_count_x
      - .offset:         44
        .size:           4
        .value_kind:     hidden_block_count_y
      - .offset:         48
        .size:           4
        .value_kind:     hidden_block_count_z
      - .offset:         52
        .size:           2
        .value_kind:     hidden_group_size_x
      - .offset:         54
        .size:           2
        .value_kind:     hidden_group_size_y
      - .offset:         56
        .size:           2
        .value_kind:     hidden_group_size_z
      - .offset:         58
        .size:           2
        .value_kind:     hidden_remainder_x
      - .offset:         60
        .size:           2
        .value_kind:     hidden_remainder_y
      - .offset:         62
        .size:           2
        .value_kind:     hidden_remainder_z
      - .offset:         80
        .size:           8
        .value_kind:     hidden_global_offset_x
      - .offset:         88
        .size:           8
        .value_kind:     hidden_global_offset_y
      - .offset:         96
        .size:           8
        .value_kind:     hidden_global_offset_z
      - .offset:         104
        .size:           2
        .value_kind:     hidden_grid_dims
      - .offset:         160
        .size:           4
        .value_kind:     hidden_dynamic_lds_size
    .group_segment_fixed_size: 0
    .kernarg_segment_align: 8
    .kernarg_segment_size: 296
    .language:       OpenCL C
    .language_version:
      - 2
      - 0
    .max_flat_workgroup_size: 1024
    .name:           _ZN2at6native32tensor_kernel_scan_innermost_dimIiSt10multipliesIiEEEvPT_PKS4_jjjS4_T0_
    .private_segment_fixed_size: 0
    .sgpr_count:     28
    .sgpr_spill_count: 0
    .symbol:         _ZN2at6native32tensor_kernel_scan_innermost_dimIiSt10multipliesIiEEEvPT_PKS4_jjjS4_T0_.kd
    .uniform_work_group_size: 1
    .uses_dynamic_stack: false
    .vgpr_count:     20
    .vgpr_spill_count: 0
    .wavefront_size: 32
    .workgroup_processor_mode: 1
  - .args:
      - .address_space:  global
        .offset:         0
        .size:           8
        .value_kind:     global_buffer
      - .address_space:  global
        .offset:         8
        .size:           8
        .value_kind:     global_buffer
      - .offset:         16
        .size:           4
        .value_kind:     by_value
      - .offset:         20
        .size:           4
        .value_kind:     by_value
      - .offset:         24
        .size:           4
        .value_kind:     by_value
      - .offset:         28
        .size:           4
        .value_kind:     by_value
      - .offset:         32
        .size:           1
        .value_kind:     by_value
      - .offset:         40
        .size:           4
        .value_kind:     hidden_block_count_x
      - .offset:         44
        .size:           4
        .value_kind:     hidden_block_count_y
      - .offset:         48
        .size:           4
        .value_kind:     hidden_block_count_z
      - .offset:         52
        .size:           2
        .value_kind:     hidden_group_size_x
      - .offset:         54
        .size:           2
        .value_kind:     hidden_group_size_y
      - .offset:         56
        .size:           2
        .value_kind:     hidden_group_size_z
      - .offset:         58
        .size:           2
        .value_kind:     hidden_remainder_x
      - .offset:         60
        .size:           2
        .value_kind:     hidden_remainder_y
      - .offset:         62
        .size:           2
        .value_kind:     hidden_remainder_z
      - .offset:         80
        .size:           8
        .value_kind:     hidden_global_offset_x
      - .offset:         88
        .size:           8
        .value_kind:     hidden_global_offset_y
      - .offset:         96
        .size:           8
        .value_kind:     hidden_global_offset_z
      - .offset:         104
        .size:           2
        .value_kind:     hidden_grid_dims
    .group_segment_fixed_size: 0
    .kernarg_segment_align: 8
    .kernarg_segment_size: 296
    .language:       OpenCL C
    .language_version:
      - 2
      - 0
    .max_flat_workgroup_size: 1024
    .name:           _ZN2at6native28tensor_kernel_scan_outer_dimIijSt10multipliesIiEEEvPT_PKS4_jjjS4_T1_
    .private_segment_fixed_size: 0
    .sgpr_count:     28
    .sgpr_spill_count: 0
    .symbol:         _ZN2at6native28tensor_kernel_scan_outer_dimIijSt10multipliesIiEEEvPT_PKS4_jjjS4_T1_.kd
    .uniform_work_group_size: 1
    .uses_dynamic_stack: false
    .vgpr_count:     9
    .vgpr_spill_count: 0
    .wavefront_size: 32
    .workgroup_processor_mode: 1
  - .args:
      - .address_space:  global
        .offset:         0
        .size:           8
        .value_kind:     global_buffer
      - .address_space:  global
        .offset:         8
        .size:           8
        .value_kind:     global_buffer
      - .offset:         16
        .size:           4
        .value_kind:     by_value
      - .offset:         20
        .size:           4
        .value_kind:     by_value
      - .offset:         24
        .size:           4
        .value_kind:     by_value
      - .offset:         28
        .size:           4
        .value_kind:     by_value
      - .offset:         32
        .size:           1
        .value_kind:     by_value
      - .offset:         40
        .size:           4
        .value_kind:     hidden_block_count_x
      - .offset:         44
        .size:           4
        .value_kind:     hidden_block_count_y
      - .offset:         48
        .size:           4
        .value_kind:     hidden_block_count_z
      - .offset:         52
        .size:           2
        .value_kind:     hidden_group_size_x
      - .offset:         54
        .size:           2
        .value_kind:     hidden_group_size_y
      - .offset:         56
        .size:           2
        .value_kind:     hidden_group_size_z
      - .offset:         58
        .size:           2
        .value_kind:     hidden_remainder_x
      - .offset:         60
        .size:           2
        .value_kind:     hidden_remainder_y
      - .offset:         62
        .size:           2
        .value_kind:     hidden_remainder_z
      - .offset:         80
        .size:           8
        .value_kind:     hidden_global_offset_x
      - .offset:         88
        .size:           8
        .value_kind:     hidden_global_offset_y
      - .offset:         96
        .size:           8
        .value_kind:     hidden_global_offset_z
      - .offset:         104
        .size:           2
        .value_kind:     hidden_grid_dims
    .group_segment_fixed_size: 0
    .kernarg_segment_align: 8
    .kernarg_segment_size: 296
    .language:       OpenCL C
    .language_version:
      - 2
      - 0
    .max_flat_workgroup_size: 1024
    .name:           _ZN2at6native28tensor_kernel_scan_outer_dimIimSt10multipliesIiEEEvPT_PKS4_jjjS4_T1_
    .private_segment_fixed_size: 0
    .sgpr_count:     27
    .sgpr_spill_count: 0
    .symbol:         _ZN2at6native28tensor_kernel_scan_outer_dimIimSt10multipliesIiEEEvPT_PKS4_jjjS4_T1_.kd
    .uniform_work_group_size: 1
    .uses_dynamic_stack: false
    .vgpr_count:     9
    .vgpr_spill_count: 0
    .wavefront_size: 32
    .workgroup_processor_mode: 1
  - .args:
      - .address_space:  global
        .offset:         0
        .size:           8
        .value_kind:     global_buffer
      - .offset:         8
        .size:           4
        .value_kind:     by_value
      - .offset:         12
        .size:           4
        .value_kind:     by_value
      - .address_space:  global
        .offset:         16
        .size:           8
        .value_kind:     global_buffer
      - .offset:         24
        .size:           4
        .value_kind:     hidden_block_count_x
      - .offset:         28
        .size:           4
        .value_kind:     hidden_block_count_y
      - .offset:         32
        .size:           4
        .value_kind:     hidden_block_count_z
      - .offset:         36
        .size:           2
        .value_kind:     hidden_group_size_x
      - .offset:         38
        .size:           2
        .value_kind:     hidden_group_size_y
      - .offset:         40
        .size:           2
        .value_kind:     hidden_group_size_z
      - .offset:         42
        .size:           2
        .value_kind:     hidden_remainder_x
      - .offset:         44
        .size:           2
        .value_kind:     hidden_remainder_y
      - .offset:         46
        .size:           2
        .value_kind:     hidden_remainder_z
      - .offset:         64
        .size:           8
        .value_kind:     hidden_global_offset_x
      - .offset:         72
        .size:           8
        .value_kind:     hidden_global_offset_y
      - .offset:         80
        .size:           8
        .value_kind:     hidden_global_offset_z
      - .offset:         88
        .size:           2
        .value_kind:     hidden_grid_dims
    .group_segment_fixed_size: 0
    .kernarg_segment_align: 8
    .kernarg_segment_size: 280
    .language:       OpenCL C
    .language_version:
      - 2
      - 0
    .max_flat_workgroup_size: 256
    .name:           _ZN7rocprim17ROCPRIM_304000_NS6detail31init_lookback_scan_state_kernelINS1_19lookback_scan_stateIlLb1ELb1EEEEEvT_jjPNS5_10value_typeE
    .private_segment_fixed_size: 0
    .sgpr_count:     18
    .sgpr_spill_count: 0
    .symbol:         _ZN7rocprim17ROCPRIM_304000_NS6detail31init_lookback_scan_state_kernelINS1_19lookback_scan_stateIlLb1ELb1EEEEEvT_jjPNS5_10value_typeE.kd
    .uniform_work_group_size: 1
    .uses_dynamic_stack: false
    .vgpr_count:     9
    .vgpr_spill_count: 0
    .wavefront_size: 32
    .workgroup_processor_mode: 1
  - .args:
      - .address_space:  global
        .offset:         0
        .size:           8
        .value_kind:     global_buffer
      - .offset:         8
        .size:           4
        .value_kind:     by_value
      - .offset:         12
        .size:           4
        .value_kind:     by_value
      - .address_space:  global
        .offset:         16
        .size:           8
        .value_kind:     global_buffer
      - .offset:         24
        .size:           4
        .value_kind:     hidden_block_count_x
      - .offset:         28
        .size:           4
        .value_kind:     hidden_block_count_y
      - .offset:         32
        .size:           4
        .value_kind:     hidden_block_count_z
      - .offset:         36
        .size:           2
        .value_kind:     hidden_group_size_x
      - .offset:         38
        .size:           2
        .value_kind:     hidden_group_size_y
      - .offset:         40
        .size:           2
        .value_kind:     hidden_group_size_z
      - .offset:         42
        .size:           2
        .value_kind:     hidden_remainder_x
      - .offset:         44
        .size:           2
        .value_kind:     hidden_remainder_y
      - .offset:         46
        .size:           2
        .value_kind:     hidden_remainder_z
      - .offset:         64
        .size:           8
        .value_kind:     hidden_global_offset_x
      - .offset:         72
        .size:           8
        .value_kind:     hidden_global_offset_y
      - .offset:         80
        .size:           8
        .value_kind:     hidden_global_offset_z
      - .offset:         88
        .size:           2
        .value_kind:     hidden_grid_dims
    .group_segment_fixed_size: 0
    .kernarg_segment_align: 8
    .kernarg_segment_size: 280
    .language:       OpenCL C
    .language_version:
      - 2
      - 0
    .max_flat_workgroup_size: 256
    .name:           _ZN7rocprim17ROCPRIM_304000_NS6detail31init_lookback_scan_state_kernelINS1_19lookback_scan_stateIlLb0ELb1EEEEEvT_jjPNS5_10value_typeE
    .private_segment_fixed_size: 0
    .sgpr_count:     18
    .sgpr_spill_count: 0
    .symbol:         _ZN7rocprim17ROCPRIM_304000_NS6detail31init_lookback_scan_state_kernelINS1_19lookback_scan_stateIlLb0ELb1EEEEEvT_jjPNS5_10value_typeE.kd
    .uniform_work_group_size: 1
    .uses_dynamic_stack: false
    .vgpr_count:     9
    .vgpr_spill_count: 0
    .wavefront_size: 32
    .workgroup_processor_mode: 1
  - .args:
      - .address_space:  global
        .offset:         0
        .size:           8
        .value_kind:     global_buffer
      - .address_space:  global
        .offset:         8
        .size:           8
        .value_kind:     global_buffer
      - .offset:         16
        .size:           8
        .value_kind:     by_value
      - .offset:         24
        .size:           8
        .value_kind:     by_value
      - .offset:         32
        .size:           1
        .value_kind:     by_value
      - .address_space:  global
        .offset:         40
        .size:           8
        .value_kind:     global_buffer
      - .offset:         48
        .size:           4
        .value_kind:     by_value
      - .address_space:  global
        .offset:         56
        .size:           8
        .value_kind:     global_buffer
      - .address_space:  global
        .offset:         64
        .size:           8
        .value_kind:     global_buffer
      - .offset:         72
        .size:           1
        .value_kind:     by_value
      - .offset:         73
        .size:           1
        .value_kind:     by_value
    .group_segment_fixed_size: 0
    .kernarg_segment_align: 8
    .kernarg_segment_size: 76
    .language:       OpenCL C
    .language_version:
      - 2
      - 0
    .max_flat_workgroup_size: 256
    .name:           _ZN7rocprim17ROCPRIM_304000_NS6detail20lookback_scan_kernelILNS1_25lookback_scan_determinismE0ELb0ENS1_19wrapped_scan_configINS0_14default_configElEEPKlPlSt10multipliesIlEllNS1_19lookback_scan_stateIlLb1ELb1EEEEEvT2_T3_mT5_T4_T7_jPT6_SK_bb
    .private_segment_fixed_size: 0
    .sgpr_count:     0
    .sgpr_spill_count: 0
    .symbol:         _ZN7rocprim17ROCPRIM_304000_NS6detail20lookback_scan_kernelILNS1_25lookback_scan_determinismE0ELb0ENS1_19wrapped_scan_configINS0_14default_configElEEPKlPlSt10multipliesIlEllNS1_19lookback_scan_stateIlLb1ELb1EEEEEvT2_T3_mT5_T4_T7_jPT6_SK_bb.kd
    .uniform_work_group_size: 1
    .uses_dynamic_stack: false
    .vgpr_count:     0
    .vgpr_spill_count: 0
    .wavefront_size: 32
    .workgroup_processor_mode: 1
  - .args:
      - .address_space:  global
        .offset:         0
        .size:           8
        .value_kind:     global_buffer
      - .address_space:  global
        .offset:         8
        .size:           8
        .value_kind:     global_buffer
      - .offset:         16
        .size:           8
        .value_kind:     by_value
      - .offset:         24
        .size:           8
        .value_kind:     by_value
      - .offset:         32
        .size:           1
        .value_kind:     by_value
      - .address_space:  global
        .offset:         40
        .size:           8
        .value_kind:     global_buffer
      - .offset:         48
        .size:           4
        .value_kind:     by_value
      - .address_space:  global
        .offset:         56
        .size:           8
        .value_kind:     global_buffer
      - .address_space:  global
        .offset:         64
        .size:           8
        .value_kind:     global_buffer
      - .offset:         72
        .size:           1
        .value_kind:     by_value
      - .offset:         73
        .size:           1
        .value_kind:     by_value
    .group_segment_fixed_size: 33792
    .kernarg_segment_align: 8
    .kernarg_segment_size: 76
    .language:       OpenCL C
    .language_version:
      - 2
      - 0
    .max_flat_workgroup_size: 256
    .name:           _ZN7rocprim17ROCPRIM_304000_NS6detail20lookback_scan_kernelILNS1_25lookback_scan_determinismE0ELb0ENS1_19wrapped_scan_configINS0_14default_configElEEPKlPlSt10multipliesIlEllNS1_19lookback_scan_stateIlLb0ELb1EEEEEvT2_T3_mT5_T4_T7_jPT6_SK_bb
    .private_segment_fixed_size: 0
    .sgpr_count:     70
    .sgpr_spill_count: 0
    .symbol:         _ZN7rocprim17ROCPRIM_304000_NS6detail20lookback_scan_kernelILNS1_25lookback_scan_determinismE0ELb0ENS1_19wrapped_scan_configINS0_14default_configElEEPKlPlSt10multipliesIlEllNS1_19lookback_scan_stateIlLb0ELb1EEEEEvT2_T3_mT5_T4_T7_jPT6_SK_bb.kd
    .uniform_work_group_size: 1
    .uses_dynamic_stack: false
    .vgpr_count:     96
    .vgpr_spill_count: 0
    .wavefront_size: 32
    .workgroup_processor_mode: 1
  - .args:
      - .address_space:  global
        .offset:         0
        .size:           8
        .value_kind:     global_buffer
      - .offset:         8
        .size:           8
        .value_kind:     by_value
      - .address_space:  global
        .offset:         16
        .size:           8
        .value_kind:     global_buffer
      - .offset:         24
        .size:           1
        .value_kind:     by_value
      - .offset:         32
        .size:           4
        .value_kind:     hidden_block_count_x
      - .offset:         36
        .size:           4
        .value_kind:     hidden_block_count_y
      - .offset:         40
        .size:           4
        .value_kind:     hidden_block_count_z
      - .offset:         44
        .size:           2
        .value_kind:     hidden_group_size_x
      - .offset:         46
        .size:           2
        .value_kind:     hidden_group_size_y
      - .offset:         48
        .size:           2
        .value_kind:     hidden_group_size_z
      - .offset:         50
        .size:           2
        .value_kind:     hidden_remainder_x
      - .offset:         52
        .size:           2
        .value_kind:     hidden_remainder_y
      - .offset:         54
        .size:           2
        .value_kind:     hidden_remainder_z
      - .offset:         72
        .size:           8
        .value_kind:     hidden_global_offset_x
      - .offset:         80
        .size:           8
        .value_kind:     hidden_global_offset_y
      - .offset:         88
        .size:           8
        .value_kind:     hidden_global_offset_z
      - .offset:         96
        .size:           2
        .value_kind:     hidden_grid_dims
    .group_segment_fixed_size: 0
    .kernarg_segment_align: 8
    .kernarg_segment_size: 288
    .language:       OpenCL C
    .language_version:
      - 2
      - 0
    .max_flat_workgroup_size: 512
    .name:           _ZN7rocprim17ROCPRIM_304000_NS6detail16transform_kernelINS1_24wrapped_transform_configINS0_14default_configElEElPlS6_NS0_8identityIlEEEEvT1_mT2_T3_
    .private_segment_fixed_size: 0
    .sgpr_count:     18
    .sgpr_spill_count: 0
    .symbol:         _ZN7rocprim17ROCPRIM_304000_NS6detail16transform_kernelINS1_24wrapped_transform_configINS0_14default_configElEElPlS6_NS0_8identityIlEEEEvT1_mT2_T3_.kd
    .uniform_work_group_size: 1
    .uses_dynamic_stack: false
    .vgpr_count:     5
    .vgpr_spill_count: 0
    .wavefront_size: 32
    .workgroup_processor_mode: 1
  - .args:
      - .address_space:  global
        .offset:         0
        .size:           8
        .value_kind:     global_buffer
      - .offset:         8
        .size:           8
        .value_kind:     by_value
      - .offset:         16
        .size:           8
        .value_kind:     by_value
      - .address_space:  global
        .offset:         24
        .size:           8
        .value_kind:     global_buffer
      - .offset:         32
        .size:           1
        .value_kind:     by_value
    .group_segment_fixed_size: 33792
    .kernarg_segment_align: 8
    .kernarg_segment_size: 36
    .language:       OpenCL C
    .language_version:
      - 2
      - 0
    .max_flat_workgroup_size: 256
    .name:           _ZN7rocprim17ROCPRIM_304000_NS6detail18single_scan_kernelILb0ENS1_19wrapped_scan_configINS0_14default_configElEEPKlPlSt10multipliesIlEllEEvT1_mT4_T2_T3_
    .private_segment_fixed_size: 0
    .sgpr_count:     70
    .sgpr_spill_count: 0
    .symbol:         _ZN7rocprim17ROCPRIM_304000_NS6detail18single_scan_kernelILb0ENS1_19wrapped_scan_configINS0_14default_configElEEPKlPlSt10multipliesIlEllEEvT1_mT4_T2_T3_.kd
    .uniform_work_group_size: 1
    .uses_dynamic_stack: false
    .vgpr_count:     78
    .vgpr_spill_count: 0
    .wavefront_size: 32
    .workgroup_processor_mode: 1
  - .args:
      - .address_space:  global
        .offset:         0
        .size:           8
        .value_kind:     global_buffer
      - .address_space:  global
        .offset:         8
        .size:           8
        .value_kind:     global_buffer
      - .offset:         16
        .size:           4
        .value_kind:     by_value
      - .offset:         20
        .size:           4
        .value_kind:     by_value
      - .offset:         24
        .size:           4
        .value_kind:     by_value
      - .offset:         32
        .size:           8
        .value_kind:     by_value
      - .offset:         40
        .size:           1
        .value_kind:     by_value
      - .offset:         48
        .size:           4
        .value_kind:     hidden_block_count_x
      - .offset:         52
        .size:           4
        .value_kind:     hidden_block_count_y
      - .offset:         56
        .size:           4
        .value_kind:     hidden_block_count_z
      - .offset:         60
        .size:           2
        .value_kind:     hidden_group_size_x
      - .offset:         62
        .size:           2
        .value_kind:     hidden_group_size_y
      - .offset:         64
        .size:           2
        .value_kind:     hidden_group_size_z
      - .offset:         66
        .size:           2
        .value_kind:     hidden_remainder_x
      - .offset:         68
        .size:           2
        .value_kind:     hidden_remainder_y
      - .offset:         70
        .size:           2
        .value_kind:     hidden_remainder_z
      - .offset:         88
        .size:           8
        .value_kind:     hidden_global_offset_x
      - .offset:         96
        .size:           8
        .value_kind:     hidden_global_offset_y
      - .offset:         104
        .size:           8
        .value_kind:     hidden_global_offset_z
      - .offset:         112
        .size:           2
        .value_kind:     hidden_grid_dims
      - .offset:         168
        .size:           4
        .value_kind:     hidden_dynamic_lds_size
    .group_segment_fixed_size: 0
    .kernarg_segment_align: 8
    .kernarg_segment_size: 304
    .language:       OpenCL C
    .language_version:
      - 2
      - 0
    .max_flat_workgroup_size: 1024
    .name:           _ZN2at6native32tensor_kernel_scan_innermost_dimIlSt10multipliesIlEEEvPT_PKS4_jjjS4_T0_
    .private_segment_fixed_size: 0
    .sgpr_count:     29
    .sgpr_spill_count: 0
    .symbol:         _ZN2at6native32tensor_kernel_scan_innermost_dimIlSt10multipliesIlEEEvPT_PKS4_jjjS4_T0_.kd
    .uniform_work_group_size: 1
    .uses_dynamic_stack: false
    .vgpr_count:     23
    .vgpr_spill_count: 0
    .wavefront_size: 32
    .workgroup_processor_mode: 1
  - .args:
      - .address_space:  global
        .offset:         0
        .size:           8
        .value_kind:     global_buffer
      - .address_space:  global
        .offset:         8
        .size:           8
        .value_kind:     global_buffer
      - .offset:         16
        .size:           4
        .value_kind:     by_value
      - .offset:         20
        .size:           4
        .value_kind:     by_value
      - .offset:         24
        .size:           4
        .value_kind:     by_value
      - .offset:         32
        .size:           8
        .value_kind:     by_value
      - .offset:         40
        .size:           1
        .value_kind:     by_value
      - .offset:         48
        .size:           4
        .value_kind:     hidden_block_count_x
      - .offset:         52
        .size:           4
        .value_kind:     hidden_block_count_y
      - .offset:         56
        .size:           4
        .value_kind:     hidden_block_count_z
      - .offset:         60
        .size:           2
        .value_kind:     hidden_group_size_x
      - .offset:         62
        .size:           2
        .value_kind:     hidden_group_size_y
      - .offset:         64
        .size:           2
        .value_kind:     hidden_group_size_z
      - .offset:         66
        .size:           2
        .value_kind:     hidden_remainder_x
      - .offset:         68
        .size:           2
        .value_kind:     hidden_remainder_y
      - .offset:         70
        .size:           2
        .value_kind:     hidden_remainder_z
      - .offset:         88
        .size:           8
        .value_kind:     hidden_global_offset_x
      - .offset:         96
        .size:           8
        .value_kind:     hidden_global_offset_y
      - .offset:         104
        .size:           8
        .value_kind:     hidden_global_offset_z
      - .offset:         112
        .size:           2
        .value_kind:     hidden_grid_dims
    .group_segment_fixed_size: 0
    .kernarg_segment_align: 8
    .kernarg_segment_size: 304
    .language:       OpenCL C
    .language_version:
      - 2
      - 0
    .max_flat_workgroup_size: 1024
    .name:           _ZN2at6native28tensor_kernel_scan_outer_dimIljSt10multipliesIlEEEvPT_PKS4_jjjS4_T1_
    .private_segment_fixed_size: 0
    .sgpr_count:     29
    .sgpr_spill_count: 0
    .symbol:         _ZN2at6native28tensor_kernel_scan_outer_dimIljSt10multipliesIlEEEvPT_PKS4_jjjS4_T1_.kd
    .uniform_work_group_size: 1
    .uses_dynamic_stack: false
    .vgpr_count:     13
    .vgpr_spill_count: 0
    .wavefront_size: 32
    .workgroup_processor_mode: 1
  - .args:
      - .address_space:  global
        .offset:         0
        .size:           8
        .value_kind:     global_buffer
      - .address_space:  global
        .offset:         8
        .size:           8
        .value_kind:     global_buffer
      - .offset:         16
        .size:           4
        .value_kind:     by_value
      - .offset:         20
        .size:           4
        .value_kind:     by_value
      - .offset:         24
        .size:           4
        .value_kind:     by_value
      - .offset:         32
        .size:           8
        .value_kind:     by_value
      - .offset:         40
        .size:           1
        .value_kind:     by_value
      - .offset:         48
        .size:           4
        .value_kind:     hidden_block_count_x
      - .offset:         52
        .size:           4
        .value_kind:     hidden_block_count_y
      - .offset:         56
        .size:           4
        .value_kind:     hidden_block_count_z
      - .offset:         60
        .size:           2
        .value_kind:     hidden_group_size_x
      - .offset:         62
        .size:           2
        .value_kind:     hidden_group_size_y
      - .offset:         64
        .size:           2
        .value_kind:     hidden_group_size_z
      - .offset:         66
        .size:           2
        .value_kind:     hidden_remainder_x
      - .offset:         68
        .size:           2
        .value_kind:     hidden_remainder_y
      - .offset:         70
        .size:           2
        .value_kind:     hidden_remainder_z
      - .offset:         88
        .size:           8
        .value_kind:     hidden_global_offset_x
      - .offset:         96
        .size:           8
        .value_kind:     hidden_global_offset_y
      - .offset:         104
        .size:           8
        .value_kind:     hidden_global_offset_z
      - .offset:         112
        .size:           2
        .value_kind:     hidden_grid_dims
    .group_segment_fixed_size: 0
    .kernarg_segment_align: 8
    .kernarg_segment_size: 304
    .language:       OpenCL C
    .language_version:
      - 2
      - 0
    .max_flat_workgroup_size: 1024
    .name:           _ZN2at6native28tensor_kernel_scan_outer_dimIlmSt10multipliesIlEEEvPT_PKS4_jjjS4_T1_
    .private_segment_fixed_size: 0
    .sgpr_count:     28
    .sgpr_spill_count: 0
    .symbol:         _ZN2at6native28tensor_kernel_scan_outer_dimIlmSt10multipliesIlEEEvPT_PKS4_jjjS4_T1_.kd
    .uniform_work_group_size: 1
    .uses_dynamic_stack: false
    .vgpr_count:     13
    .vgpr_spill_count: 0
    .wavefront_size: 32
    .workgroup_processor_mode: 1
  - .args:
      - .address_space:  global
        .offset:         0
        .size:           8
        .value_kind:     global_buffer
      - .offset:         8
        .size:           4
        .value_kind:     by_value
      - .offset:         12
        .size:           4
        .value_kind:     by_value
      - .address_space:  global
        .offset:         16
        .size:           8
        .value_kind:     global_buffer
      - .offset:         24
        .size:           4
        .value_kind:     hidden_block_count_x
      - .offset:         28
        .size:           4
        .value_kind:     hidden_block_count_y
      - .offset:         32
        .size:           4
        .value_kind:     hidden_block_count_z
      - .offset:         36
        .size:           2
        .value_kind:     hidden_group_size_x
      - .offset:         38
        .size:           2
        .value_kind:     hidden_group_size_y
      - .offset:         40
        .size:           2
        .value_kind:     hidden_group_size_z
      - .offset:         42
        .size:           2
        .value_kind:     hidden_remainder_x
      - .offset:         44
        .size:           2
        .value_kind:     hidden_remainder_y
      - .offset:         46
        .size:           2
        .value_kind:     hidden_remainder_z
      - .offset:         64
        .size:           8
        .value_kind:     hidden_global_offset_x
      - .offset:         72
        .size:           8
        .value_kind:     hidden_global_offset_y
      - .offset:         80
        .size:           8
        .value_kind:     hidden_global_offset_z
      - .offset:         88
        .size:           2
        .value_kind:     hidden_grid_dims
    .group_segment_fixed_size: 0
    .kernarg_segment_align: 8
    .kernarg_segment_size: 280
    .language:       OpenCL C
    .language_version:
      - 2
      - 0
    .max_flat_workgroup_size: 256
    .name:           _ZN7rocprim17ROCPRIM_304000_NS6detail31init_lookback_scan_state_kernelINS1_19lookback_scan_stateIsLb1ELb1EEEEEvT_jjPNS5_10value_typeE
    .private_segment_fixed_size: 0
    .sgpr_count:     18
    .sgpr_spill_count: 0
    .symbol:         _ZN7rocprim17ROCPRIM_304000_NS6detail31init_lookback_scan_state_kernelINS1_19lookback_scan_stateIsLb1ELb1EEEEEvT_jjPNS5_10value_typeE.kd
    .uniform_work_group_size: 1
    .uses_dynamic_stack: false
    .vgpr_count:     6
    .vgpr_spill_count: 0
    .wavefront_size: 32
    .workgroup_processor_mode: 1
  - .args:
      - .address_space:  global
        .offset:         0
        .size:           8
        .value_kind:     global_buffer
      - .offset:         8
        .size:           4
        .value_kind:     by_value
      - .offset:         12
        .size:           4
        .value_kind:     by_value
      - .address_space:  global
        .offset:         16
        .size:           8
        .value_kind:     global_buffer
      - .offset:         24
        .size:           4
        .value_kind:     hidden_block_count_x
      - .offset:         28
        .size:           4
        .value_kind:     hidden_block_count_y
      - .offset:         32
        .size:           4
        .value_kind:     hidden_block_count_z
      - .offset:         36
        .size:           2
        .value_kind:     hidden_group_size_x
      - .offset:         38
        .size:           2
        .value_kind:     hidden_group_size_y
      - .offset:         40
        .size:           2
        .value_kind:     hidden_group_size_z
      - .offset:         42
        .size:           2
        .value_kind:     hidden_remainder_x
      - .offset:         44
        .size:           2
        .value_kind:     hidden_remainder_y
      - .offset:         46
        .size:           2
        .value_kind:     hidden_remainder_z
      - .offset:         64
        .size:           8
        .value_kind:     hidden_global_offset_x
      - .offset:         72
        .size:           8
        .value_kind:     hidden_global_offset_y
      - .offset:         80
        .size:           8
        .value_kind:     hidden_global_offset_z
      - .offset:         88
        .size:           2
        .value_kind:     hidden_grid_dims
    .group_segment_fixed_size: 0
    .kernarg_segment_align: 8
    .kernarg_segment_size: 280
    .language:       OpenCL C
    .language_version:
      - 2
      - 0
    .max_flat_workgroup_size: 256
    .name:           _ZN7rocprim17ROCPRIM_304000_NS6detail31init_lookback_scan_state_kernelINS1_19lookback_scan_stateIsLb0ELb1EEEEEvT_jjPNS5_10value_typeE
    .private_segment_fixed_size: 0
    .sgpr_count:     18
    .sgpr_spill_count: 0
    .symbol:         _ZN7rocprim17ROCPRIM_304000_NS6detail31init_lookback_scan_state_kernelINS1_19lookback_scan_stateIsLb0ELb1EEEEEvT_jjPNS5_10value_typeE.kd
    .uniform_work_group_size: 1
    .uses_dynamic_stack: false
    .vgpr_count:     6
    .vgpr_spill_count: 0
    .wavefront_size: 32
    .workgroup_processor_mode: 1
  - .args:
      - .address_space:  global
        .offset:         0
        .size:           8
        .value_kind:     global_buffer
      - .address_space:  global
        .offset:         8
        .size:           8
        .value_kind:     global_buffer
      - .offset:         16
        .size:           8
        .value_kind:     by_value
      - .offset:         24
        .size:           2
        .value_kind:     by_value
      - .offset:         26
        .size:           1
        .value_kind:     by_value
      - .address_space:  global
        .offset:         32
        .size:           8
        .value_kind:     global_buffer
      - .offset:         40
        .size:           4
        .value_kind:     by_value
      - .address_space:  global
        .offset:         48
        .size:           8
        .value_kind:     global_buffer
      - .address_space:  global
        .offset:         56
        .size:           8
        .value_kind:     global_buffer
      - .offset:         64
        .size:           1
        .value_kind:     by_value
      - .offset:         65
        .size:           1
        .value_kind:     by_value
    .group_segment_fixed_size: 0
    .kernarg_segment_align: 8
    .kernarg_segment_size: 68
    .language:       OpenCL C
    .language_version:
      - 2
      - 0
    .max_flat_workgroup_size: 64
    .name:           _ZN7rocprim17ROCPRIM_304000_NS6detail20lookback_scan_kernelILNS1_25lookback_scan_determinismE0ELb0ENS1_19wrapped_scan_configINS0_14default_configEsEEPKsPsSt10multipliesIsEssNS1_19lookback_scan_stateIsLb1ELb1EEEEEvT2_T3_mT5_T4_T7_jPT6_SK_bb
    .private_segment_fixed_size: 0
    .sgpr_count:     0
    .sgpr_spill_count: 0
    .symbol:         _ZN7rocprim17ROCPRIM_304000_NS6detail20lookback_scan_kernelILNS1_25lookback_scan_determinismE0ELb0ENS1_19wrapped_scan_configINS0_14default_configEsEEPKsPsSt10multipliesIsEssNS1_19lookback_scan_stateIsLb1ELb1EEEEEvT2_T3_mT5_T4_T7_jPT6_SK_bb.kd
    .uniform_work_group_size: 1
    .uses_dynamic_stack: false
    .vgpr_count:     0
    .vgpr_spill_count: 0
    .wavefront_size: 32
    .workgroup_processor_mode: 1
  - .args:
      - .address_space:  global
        .offset:         0
        .size:           8
        .value_kind:     global_buffer
      - .address_space:  global
        .offset:         8
        .size:           8
        .value_kind:     global_buffer
      - .offset:         16
        .size:           8
        .value_kind:     by_value
      - .offset:         24
        .size:           2
        .value_kind:     by_value
      - .offset:         26
        .size:           1
        .value_kind:     by_value
      - .address_space:  global
        .offset:         32
        .size:           8
        .value_kind:     global_buffer
      - .offset:         40
        .size:           4
        .value_kind:     by_value
      - .address_space:  global
        .offset:         48
        .size:           8
        .value_kind:     global_buffer
      - .address_space:  global
        .offset:         56
        .size:           8
        .value_kind:     global_buffer
      - .offset:         64
        .size:           1
        .value_kind:     by_value
      - .offset:         65
        .size:           1
        .value_kind:     by_value
    .group_segment_fixed_size: 2816
    .kernarg_segment_align: 8
    .kernarg_segment_size: 68
    .language:       OpenCL C
    .language_version:
      - 2
      - 0
    .max_flat_workgroup_size: 64
    .name:           _ZN7rocprim17ROCPRIM_304000_NS6detail20lookback_scan_kernelILNS1_25lookback_scan_determinismE0ELb0ENS1_19wrapped_scan_configINS0_14default_configEsEEPKsPsSt10multipliesIsEssNS1_19lookback_scan_stateIsLb0ELb1EEEEEvT2_T3_mT5_T4_T7_jPT6_SK_bb
    .private_segment_fixed_size: 0
    .sgpr_count:     21
    .sgpr_spill_count: 0
    .symbol:         _ZN7rocprim17ROCPRIM_304000_NS6detail20lookback_scan_kernelILNS1_25lookback_scan_determinismE0ELb0ENS1_19wrapped_scan_configINS0_14default_configEsEEPKsPsSt10multipliesIsEssNS1_19lookback_scan_stateIsLb0ELb1EEEEEvT2_T3_mT5_T4_T7_jPT6_SK_bb.kd
    .uniform_work_group_size: 1
    .uses_dynamic_stack: false
    .vgpr_count:     50
    .vgpr_spill_count: 0
    .wavefront_size: 32
    .workgroup_processor_mode: 1
  - .args:
      - .address_space:  global
        .offset:         0
        .size:           8
        .value_kind:     global_buffer
      - .offset:         8
        .size:           8
        .value_kind:     by_value
      - .address_space:  global
        .offset:         16
        .size:           8
        .value_kind:     global_buffer
      - .offset:         24
        .size:           1
        .value_kind:     by_value
      - .offset:         32
        .size:           4
        .value_kind:     hidden_block_count_x
      - .offset:         36
        .size:           4
        .value_kind:     hidden_block_count_y
      - .offset:         40
        .size:           4
        .value_kind:     hidden_block_count_z
      - .offset:         44
        .size:           2
        .value_kind:     hidden_group_size_x
      - .offset:         46
        .size:           2
        .value_kind:     hidden_group_size_y
      - .offset:         48
        .size:           2
        .value_kind:     hidden_group_size_z
      - .offset:         50
        .size:           2
        .value_kind:     hidden_remainder_x
      - .offset:         52
        .size:           2
        .value_kind:     hidden_remainder_y
      - .offset:         54
        .size:           2
        .value_kind:     hidden_remainder_z
      - .offset:         72
        .size:           8
        .value_kind:     hidden_global_offset_x
      - .offset:         80
        .size:           8
        .value_kind:     hidden_global_offset_y
      - .offset:         88
        .size:           8
        .value_kind:     hidden_global_offset_z
      - .offset:         96
        .size:           2
        .value_kind:     hidden_grid_dims
    .group_segment_fixed_size: 0
    .kernarg_segment_align: 8
    .kernarg_segment_size: 288
    .language:       OpenCL C
    .language_version:
      - 2
      - 0
    .max_flat_workgroup_size: 1024
    .name:           _ZN7rocprim17ROCPRIM_304000_NS6detail16transform_kernelINS1_24wrapped_transform_configINS0_14default_configEsEEsPsS6_NS0_8identityIsEEEEvT1_mT2_T3_
    .private_segment_fixed_size: 0
    .sgpr_count:     18
    .sgpr_spill_count: 0
    .symbol:         _ZN7rocprim17ROCPRIM_304000_NS6detail16transform_kernelINS1_24wrapped_transform_configINS0_14default_configEsEEsPsS6_NS0_8identityIsEEEEvT1_mT2_T3_.kd
    .uniform_work_group_size: 1
    .uses_dynamic_stack: false
    .vgpr_count:     6
    .vgpr_spill_count: 0
    .wavefront_size: 32
    .workgroup_processor_mode: 1
  - .args:
      - .address_space:  global
        .offset:         0
        .size:           8
        .value_kind:     global_buffer
      - .offset:         8
        .size:           8
        .value_kind:     by_value
      - .offset:         16
        .size:           2
        .value_kind:     by_value
      - .address_space:  global
        .offset:         24
        .size:           8
        .value_kind:     global_buffer
      - .offset:         32
        .size:           1
        .value_kind:     by_value
    .group_segment_fixed_size: 2816
    .kernarg_segment_align: 8
    .kernarg_segment_size: 36
    .language:       OpenCL C
    .language_version:
      - 2
      - 0
    .max_flat_workgroup_size: 64
    .name:           _ZN7rocprim17ROCPRIM_304000_NS6detail18single_scan_kernelILb0ENS1_19wrapped_scan_configINS0_14default_configEsEEPKsPsSt10multipliesIsEssEEvT1_mT4_T2_T3_
    .private_segment_fixed_size: 0
    .sgpr_count:     27
    .sgpr_spill_count: 0
    .symbol:         _ZN7rocprim17ROCPRIM_304000_NS6detail18single_scan_kernelILb0ENS1_19wrapped_scan_configINS0_14default_configEsEEPKsPsSt10multipliesIsEssEEvT1_mT4_T2_T3_.kd
    .uniform_work_group_size: 1
    .uses_dynamic_stack: false
    .vgpr_count:     34
    .vgpr_spill_count: 0
    .wavefront_size: 32
    .workgroup_processor_mode: 1
  - .args:
      - .address_space:  global
        .offset:         0
        .size:           8
        .value_kind:     global_buffer
      - .address_space:  global
        .offset:         8
        .size:           8
        .value_kind:     global_buffer
      - .offset:         16
        .size:           4
        .value_kind:     by_value
      - .offset:         20
        .size:           4
        .value_kind:     by_value
      - .offset:         24
        .size:           4
        .value_kind:     by_value
      - .offset:         28
        .size:           2
        .value_kind:     by_value
      - .offset:         30
        .size:           1
        .value_kind:     by_value
      - .offset:         32
        .size:           4
        .value_kind:     hidden_block_count_x
      - .offset:         36
        .size:           4
        .value_kind:     hidden_block_count_y
      - .offset:         40
        .size:           4
        .value_kind:     hidden_block_count_z
      - .offset:         44
        .size:           2
        .value_kind:     hidden_group_size_x
      - .offset:         46
        .size:           2
        .value_kind:     hidden_group_size_y
      - .offset:         48
        .size:           2
        .value_kind:     hidden_group_size_z
      - .offset:         50
        .size:           2
        .value_kind:     hidden_remainder_x
      - .offset:         52
        .size:           2
        .value_kind:     hidden_remainder_y
      - .offset:         54
        .size:           2
        .value_kind:     hidden_remainder_z
      - .offset:         72
        .size:           8
        .value_kind:     hidden_global_offset_x
      - .offset:         80
        .size:           8
        .value_kind:     hidden_global_offset_y
      - .offset:         88
        .size:           8
        .value_kind:     hidden_global_offset_z
      - .offset:         96
        .size:           2
        .value_kind:     hidden_grid_dims
      - .offset:         152
        .size:           4
        .value_kind:     hidden_dynamic_lds_size
    .group_segment_fixed_size: 0
    .kernarg_segment_align: 8
    .kernarg_segment_size: 288
    .language:       OpenCL C
    .language_version:
      - 2
      - 0
    .max_flat_workgroup_size: 1024
    .name:           _ZN2at6native32tensor_kernel_scan_innermost_dimIsSt10multipliesIsEEEvPT_PKS4_jjjS4_T0_
    .private_segment_fixed_size: 0
    .sgpr_count:     28
    .sgpr_spill_count: 0
    .symbol:         _ZN2at6native32tensor_kernel_scan_innermost_dimIsSt10multipliesIsEEEvPT_PKS4_jjjS4_T0_.kd
    .uniform_work_group_size: 1
    .uses_dynamic_stack: false
    .vgpr_count:     20
    .vgpr_spill_count: 0
    .wavefront_size: 32
    .workgroup_processor_mode: 1
  - .args:
      - .address_space:  global
        .offset:         0
        .size:           8
        .value_kind:     global_buffer
      - .address_space:  global
        .offset:         8
        .size:           8
        .value_kind:     global_buffer
      - .offset:         16
        .size:           4
        .value_kind:     by_value
      - .offset:         20
        .size:           4
        .value_kind:     by_value
      - .offset:         24
        .size:           4
        .value_kind:     by_value
      - .offset:         28
        .size:           2
        .value_kind:     by_value
      - .offset:         30
        .size:           1
        .value_kind:     by_value
      - .offset:         32
        .size:           4
        .value_kind:     hidden_block_count_x
      - .offset:         36
        .size:           4
        .value_kind:     hidden_block_count_y
      - .offset:         40
        .size:           4
        .value_kind:     hidden_block_count_z
      - .offset:         44
        .size:           2
        .value_kind:     hidden_group_size_x
      - .offset:         46
        .size:           2
        .value_kind:     hidden_group_size_y
      - .offset:         48
        .size:           2
        .value_kind:     hidden_group_size_z
      - .offset:         50
        .size:           2
        .value_kind:     hidden_remainder_x
      - .offset:         52
        .size:           2
        .value_kind:     hidden_remainder_y
      - .offset:         54
        .size:           2
        .value_kind:     hidden_remainder_z
      - .offset:         72
        .size:           8
        .value_kind:     hidden_global_offset_x
      - .offset:         80
        .size:           8
        .value_kind:     hidden_global_offset_y
      - .offset:         88
        .size:           8
        .value_kind:     hidden_global_offset_z
      - .offset:         96
        .size:           2
        .value_kind:     hidden_grid_dims
    .group_segment_fixed_size: 0
    .kernarg_segment_align: 8
    .kernarg_segment_size: 288
    .language:       OpenCL C
    .language_version:
      - 2
      - 0
    .max_flat_workgroup_size: 1024
    .name:           _ZN2at6native28tensor_kernel_scan_outer_dimIsjSt10multipliesIsEEEvPT_PKS4_jjjS4_T1_
    .private_segment_fixed_size: 0
    .sgpr_count:     28
    .sgpr_spill_count: 0
    .symbol:         _ZN2at6native28tensor_kernel_scan_outer_dimIsjSt10multipliesIsEEEvPT_PKS4_jjjS4_T1_.kd
    .uniform_work_group_size: 1
    .uses_dynamic_stack: false
    .vgpr_count:     9
    .vgpr_spill_count: 0
    .wavefront_size: 32
    .workgroup_processor_mode: 1
  - .args:
      - .address_space:  global
        .offset:         0
        .size:           8
        .value_kind:     global_buffer
      - .address_space:  global
        .offset:         8
        .size:           8
        .value_kind:     global_buffer
      - .offset:         16
        .size:           4
        .value_kind:     by_value
      - .offset:         20
        .size:           4
        .value_kind:     by_value
      - .offset:         24
        .size:           4
        .value_kind:     by_value
      - .offset:         28
        .size:           2
        .value_kind:     by_value
      - .offset:         30
        .size:           1
        .value_kind:     by_value
      - .offset:         32
        .size:           4
        .value_kind:     hidden_block_count_x
      - .offset:         36
        .size:           4
        .value_kind:     hidden_block_count_y
      - .offset:         40
        .size:           4
        .value_kind:     hidden_block_count_z
      - .offset:         44
        .size:           2
        .value_kind:     hidden_group_size_x
      - .offset:         46
        .size:           2
        .value_kind:     hidden_group_size_y
      - .offset:         48
        .size:           2
        .value_kind:     hidden_group_size_z
      - .offset:         50
        .size:           2
        .value_kind:     hidden_remainder_x
      - .offset:         52
        .size:           2
        .value_kind:     hidden_remainder_y
      - .offset:         54
        .size:           2
        .value_kind:     hidden_remainder_z
      - .offset:         72
        .size:           8
        .value_kind:     hidden_global_offset_x
      - .offset:         80
        .size:           8
        .value_kind:     hidden_global_offset_y
      - .offset:         88
        .size:           8
        .value_kind:     hidden_global_offset_z
      - .offset:         96
        .size:           2
        .value_kind:     hidden_grid_dims
    .group_segment_fixed_size: 0
    .kernarg_segment_align: 8
    .kernarg_segment_size: 288
    .language:       OpenCL C
    .language_version:
      - 2
      - 0
    .max_flat_workgroup_size: 1024
    .name:           _ZN2at6native28tensor_kernel_scan_outer_dimIsmSt10multipliesIsEEEvPT_PKS4_jjjS4_T1_
    .private_segment_fixed_size: 0
    .sgpr_count:     27
    .sgpr_spill_count: 0
    .symbol:         _ZN2at6native28tensor_kernel_scan_outer_dimIsmSt10multipliesIsEEEvPT_PKS4_jjjS4_T1_.kd
    .uniform_work_group_size: 1
    .uses_dynamic_stack: false
    .vgpr_count:     9
    .vgpr_spill_count: 0
    .wavefront_size: 32
    .workgroup_processor_mode: 1
  - .args:
      - .address_space:  global
        .offset:         0
        .size:           8
        .value_kind:     global_buffer
      - .offset:         8
        .size:           4
        .value_kind:     by_value
      - .offset:         12
        .size:           4
        .value_kind:     by_value
      - .address_space:  global
        .offset:         16
        .size:           8
        .value_kind:     global_buffer
      - .offset:         24
        .size:           4
        .value_kind:     hidden_block_count_x
      - .offset:         28
        .size:           4
        .value_kind:     hidden_block_count_y
      - .offset:         32
        .size:           4
        .value_kind:     hidden_block_count_z
      - .offset:         36
        .size:           2
        .value_kind:     hidden_group_size_x
      - .offset:         38
        .size:           2
        .value_kind:     hidden_group_size_y
      - .offset:         40
        .size:           2
        .value_kind:     hidden_group_size_z
      - .offset:         42
        .size:           2
        .value_kind:     hidden_remainder_x
      - .offset:         44
        .size:           2
        .value_kind:     hidden_remainder_y
      - .offset:         46
        .size:           2
        .value_kind:     hidden_remainder_z
      - .offset:         64
        .size:           8
        .value_kind:     hidden_global_offset_x
      - .offset:         72
        .size:           8
        .value_kind:     hidden_global_offset_y
      - .offset:         80
        .size:           8
        .value_kind:     hidden_global_offset_z
      - .offset:         88
        .size:           2
        .value_kind:     hidden_grid_dims
    .group_segment_fixed_size: 0
    .kernarg_segment_align: 8
    .kernarg_segment_size: 280
    .language:       OpenCL C
    .language_version:
      - 2
      - 0
    .max_flat_workgroup_size: 256
    .name:           _ZN7rocprim17ROCPRIM_304000_NS6detail31init_lookback_scan_state_kernelINS1_19lookback_scan_stateIdLb1ELb1EEEEEvT_jjPNS5_10value_typeE
    .private_segment_fixed_size: 0
    .sgpr_count:     18
    .sgpr_spill_count: 0
    .symbol:         _ZN7rocprim17ROCPRIM_304000_NS6detail31init_lookback_scan_state_kernelINS1_19lookback_scan_stateIdLb1ELb1EEEEEvT_jjPNS5_10value_typeE.kd
    .uniform_work_group_size: 1
    .uses_dynamic_stack: false
    .vgpr_count:     9
    .vgpr_spill_count: 0
    .wavefront_size: 32
    .workgroup_processor_mode: 1
  - .args:
      - .address_space:  global
        .offset:         0
        .size:           8
        .value_kind:     global_buffer
      - .offset:         8
        .size:           4
        .value_kind:     by_value
      - .offset:         12
        .size:           4
        .value_kind:     by_value
      - .address_space:  global
        .offset:         16
        .size:           8
        .value_kind:     global_buffer
      - .offset:         24
        .size:           4
        .value_kind:     hidden_block_count_x
      - .offset:         28
        .size:           4
        .value_kind:     hidden_block_count_y
      - .offset:         32
        .size:           4
        .value_kind:     hidden_block_count_z
      - .offset:         36
        .size:           2
        .value_kind:     hidden_group_size_x
      - .offset:         38
        .size:           2
        .value_kind:     hidden_group_size_y
      - .offset:         40
        .size:           2
        .value_kind:     hidden_group_size_z
      - .offset:         42
        .size:           2
        .value_kind:     hidden_remainder_x
      - .offset:         44
        .size:           2
        .value_kind:     hidden_remainder_y
      - .offset:         46
        .size:           2
        .value_kind:     hidden_remainder_z
      - .offset:         64
        .size:           8
        .value_kind:     hidden_global_offset_x
      - .offset:         72
        .size:           8
        .value_kind:     hidden_global_offset_y
      - .offset:         80
        .size:           8
        .value_kind:     hidden_global_offset_z
      - .offset:         88
        .size:           2
        .value_kind:     hidden_grid_dims
    .group_segment_fixed_size: 0
    .kernarg_segment_align: 8
    .kernarg_segment_size: 280
    .language:       OpenCL C
    .language_version:
      - 2
      - 0
    .max_flat_workgroup_size: 256
    .name:           _ZN7rocprim17ROCPRIM_304000_NS6detail31init_lookback_scan_state_kernelINS1_19lookback_scan_stateIdLb0ELb1EEEEEvT_jjPNS5_10value_typeE
    .private_segment_fixed_size: 0
    .sgpr_count:     18
    .sgpr_spill_count: 0
    .symbol:         _ZN7rocprim17ROCPRIM_304000_NS6detail31init_lookback_scan_state_kernelINS1_19lookback_scan_stateIdLb0ELb1EEEEEvT_jjPNS5_10value_typeE.kd
    .uniform_work_group_size: 1
    .uses_dynamic_stack: false
    .vgpr_count:     9
    .vgpr_spill_count: 0
    .wavefront_size: 32
    .workgroup_processor_mode: 1
  - .args:
      - .address_space:  global
        .offset:         0
        .size:           8
        .value_kind:     global_buffer
      - .address_space:  global
        .offset:         8
        .size:           8
        .value_kind:     global_buffer
      - .offset:         16
        .size:           8
        .value_kind:     by_value
      - .offset:         24
        .size:           8
        .value_kind:     by_value
      - .offset:         32
        .size:           1
        .value_kind:     by_value
      - .address_space:  global
        .offset:         40
        .size:           8
        .value_kind:     global_buffer
      - .offset:         48
        .size:           4
        .value_kind:     by_value
      - .address_space:  global
        .offset:         56
        .size:           8
        .value_kind:     global_buffer
      - .address_space:  global
        .offset:         64
        .size:           8
        .value_kind:     global_buffer
      - .offset:         72
        .size:           1
        .value_kind:     by_value
      - .offset:         73
        .size:           1
        .value_kind:     by_value
    .group_segment_fixed_size: 0
    .kernarg_segment_align: 8
    .kernarg_segment_size: 76
    .language:       OpenCL C
    .language_version:
      - 2
      - 0
    .max_flat_workgroup_size: 256
    .name:           _ZN7rocprim17ROCPRIM_304000_NS6detail20lookback_scan_kernelILNS1_25lookback_scan_determinismE0ELb0ENS1_19wrapped_scan_configINS0_14default_configEdEEPKdPdSt10multipliesIdEddNS1_19lookback_scan_stateIdLb1ELb1EEEEEvT2_T3_mT5_T4_T7_jPT6_SK_bb
    .private_segment_fixed_size: 0
    .sgpr_count:     0
    .sgpr_spill_count: 0
    .symbol:         _ZN7rocprim17ROCPRIM_304000_NS6detail20lookback_scan_kernelILNS1_25lookback_scan_determinismE0ELb0ENS1_19wrapped_scan_configINS0_14default_configEdEEPKdPdSt10multipliesIdEddNS1_19lookback_scan_stateIdLb1ELb1EEEEEvT2_T3_mT5_T4_T7_jPT6_SK_bb.kd
    .uniform_work_group_size: 1
    .uses_dynamic_stack: false
    .vgpr_count:     0
    .vgpr_spill_count: 0
    .wavefront_size: 32
    .workgroup_processor_mode: 1
  - .args:
      - .address_space:  global
        .offset:         0
        .size:           8
        .value_kind:     global_buffer
      - .address_space:  global
        .offset:         8
        .size:           8
        .value_kind:     global_buffer
      - .offset:         16
        .size:           8
        .value_kind:     by_value
      - .offset:         24
        .size:           8
        .value_kind:     by_value
      - .offset:         32
        .size:           1
        .value_kind:     by_value
      - .address_space:  global
        .offset:         40
        .size:           8
        .value_kind:     global_buffer
      - .offset:         48
        .size:           4
        .value_kind:     by_value
      - .address_space:  global
        .offset:         56
        .size:           8
        .value_kind:     global_buffer
      - .address_space:  global
        .offset:         64
        .size:           8
        .value_kind:     global_buffer
      - .offset:         72
        .size:           1
        .value_kind:     by_value
      - .offset:         73
        .size:           1
        .value_kind:     by_value
    .group_segment_fixed_size: 33792
    .kernarg_segment_align: 8
    .kernarg_segment_size: 76
    .language:       OpenCL C
    .language_version:
      - 2
      - 0
    .max_flat_workgroup_size: 256
    .name:           _ZN7rocprim17ROCPRIM_304000_NS6detail20lookback_scan_kernelILNS1_25lookback_scan_determinismE0ELb0ENS1_19wrapped_scan_configINS0_14default_configEdEEPKdPdSt10multipliesIdEddNS1_19lookback_scan_stateIdLb0ELb1EEEEEvT2_T3_mT5_T4_T7_jPT6_SK_bb
    .private_segment_fixed_size: 0
    .sgpr_count:     70
    .sgpr_spill_count: 0
    .symbol:         _ZN7rocprim17ROCPRIM_304000_NS6detail20lookback_scan_kernelILNS1_25lookback_scan_determinismE0ELb0ENS1_19wrapped_scan_configINS0_14default_configEdEEPKdPdSt10multipliesIdEddNS1_19lookback_scan_stateIdLb0ELb1EEEEEvT2_T3_mT5_T4_T7_jPT6_SK_bb.kd
    .uniform_work_group_size: 1
    .uses_dynamic_stack: false
    .vgpr_count:     96
    .vgpr_spill_count: 0
    .wavefront_size: 32
    .workgroup_processor_mode: 1
  - .args:
      - .address_space:  global
        .offset:         0
        .size:           8
        .value_kind:     global_buffer
      - .offset:         8
        .size:           8
        .value_kind:     by_value
      - .address_space:  global
        .offset:         16
        .size:           8
        .value_kind:     global_buffer
      - .offset:         24
        .size:           1
        .value_kind:     by_value
      - .offset:         32
        .size:           4
        .value_kind:     hidden_block_count_x
      - .offset:         36
        .size:           4
        .value_kind:     hidden_block_count_y
      - .offset:         40
        .size:           4
        .value_kind:     hidden_block_count_z
      - .offset:         44
        .size:           2
        .value_kind:     hidden_group_size_x
      - .offset:         46
        .size:           2
        .value_kind:     hidden_group_size_y
      - .offset:         48
        .size:           2
        .value_kind:     hidden_group_size_z
      - .offset:         50
        .size:           2
        .value_kind:     hidden_remainder_x
      - .offset:         52
        .size:           2
        .value_kind:     hidden_remainder_y
      - .offset:         54
        .size:           2
        .value_kind:     hidden_remainder_z
      - .offset:         72
        .size:           8
        .value_kind:     hidden_global_offset_x
      - .offset:         80
        .size:           8
        .value_kind:     hidden_global_offset_y
      - .offset:         88
        .size:           8
        .value_kind:     hidden_global_offset_z
      - .offset:         96
        .size:           2
        .value_kind:     hidden_grid_dims
    .group_segment_fixed_size: 0
    .kernarg_segment_align: 8
    .kernarg_segment_size: 288
    .language:       OpenCL C
    .language_version:
      - 2
      - 0
    .max_flat_workgroup_size: 512
    .name:           _ZN7rocprim17ROCPRIM_304000_NS6detail16transform_kernelINS1_24wrapped_transform_configINS0_14default_configEdEEdPdS6_NS0_8identityIdEEEEvT1_mT2_T3_
    .private_segment_fixed_size: 0
    .sgpr_count:     18
    .sgpr_spill_count: 0
    .symbol:         _ZN7rocprim17ROCPRIM_304000_NS6detail16transform_kernelINS1_24wrapped_transform_configINS0_14default_configEdEEdPdS6_NS0_8identityIdEEEEvT1_mT2_T3_.kd
    .uniform_work_group_size: 1
    .uses_dynamic_stack: false
    .vgpr_count:     5
    .vgpr_spill_count: 0
    .wavefront_size: 32
    .workgroup_processor_mode: 1
  - .args:
      - .address_space:  global
        .offset:         0
        .size:           8
        .value_kind:     global_buffer
      - .offset:         8
        .size:           8
        .value_kind:     by_value
      - .offset:         16
        .size:           8
        .value_kind:     by_value
      - .address_space:  global
        .offset:         24
        .size:           8
        .value_kind:     global_buffer
      - .offset:         32
        .size:           1
        .value_kind:     by_value
    .group_segment_fixed_size: 33792
    .kernarg_segment_align: 8
    .kernarg_segment_size: 36
    .language:       OpenCL C
    .language_version:
      - 2
      - 0
    .max_flat_workgroup_size: 256
    .name:           _ZN7rocprim17ROCPRIM_304000_NS6detail18single_scan_kernelILb0ENS1_19wrapped_scan_configINS0_14default_configEdEEPKdPdSt10multipliesIdEddEEvT1_mT4_T2_T3_
    .private_segment_fixed_size: 0
    .sgpr_count:     70
    .sgpr_spill_count: 0
    .symbol:         _ZN7rocprim17ROCPRIM_304000_NS6detail18single_scan_kernelILb0ENS1_19wrapped_scan_configINS0_14default_configEdEEPKdPdSt10multipliesIdEddEEvT1_mT4_T2_T3_.kd
    .uniform_work_group_size: 1
    .uses_dynamic_stack: false
    .vgpr_count:     90
    .vgpr_spill_count: 0
    .wavefront_size: 32
    .workgroup_processor_mode: 1
  - .args:
      - .address_space:  global
        .offset:         0
        .size:           8
        .value_kind:     global_buffer
      - .address_space:  global
        .offset:         8
        .size:           8
        .value_kind:     global_buffer
      - .offset:         16
        .size:           4
        .value_kind:     by_value
      - .offset:         20
        .size:           4
        .value_kind:     by_value
      - .offset:         24
        .size:           4
        .value_kind:     by_value
      - .offset:         32
        .size:           8
        .value_kind:     by_value
      - .offset:         40
        .size:           1
        .value_kind:     by_value
      - .offset:         48
        .size:           4
        .value_kind:     hidden_block_count_x
      - .offset:         52
        .size:           4
        .value_kind:     hidden_block_count_y
      - .offset:         56
        .size:           4
        .value_kind:     hidden_block_count_z
      - .offset:         60
        .size:           2
        .value_kind:     hidden_group_size_x
      - .offset:         62
        .size:           2
        .value_kind:     hidden_group_size_y
      - .offset:         64
        .size:           2
        .value_kind:     hidden_group_size_z
      - .offset:         66
        .size:           2
        .value_kind:     hidden_remainder_x
      - .offset:         68
        .size:           2
        .value_kind:     hidden_remainder_y
      - .offset:         70
        .size:           2
        .value_kind:     hidden_remainder_z
      - .offset:         88
        .size:           8
        .value_kind:     hidden_global_offset_x
      - .offset:         96
        .size:           8
        .value_kind:     hidden_global_offset_y
      - .offset:         104
        .size:           8
        .value_kind:     hidden_global_offset_z
      - .offset:         112
        .size:           2
        .value_kind:     hidden_grid_dims
      - .offset:         168
        .size:           4
        .value_kind:     hidden_dynamic_lds_size
    .group_segment_fixed_size: 0
    .kernarg_segment_align: 8
    .kernarg_segment_size: 304
    .language:       OpenCL C
    .language_version:
      - 2
      - 0
    .max_flat_workgroup_size: 1024
    .name:           _ZN2at6native32tensor_kernel_scan_innermost_dimIdSt10multipliesIdEEEvPT_PKS4_jjjS4_T0_
    .private_segment_fixed_size: 0
    .sgpr_count:     29
    .sgpr_spill_count: 0
    .symbol:         _ZN2at6native32tensor_kernel_scan_innermost_dimIdSt10multipliesIdEEEvPT_PKS4_jjjS4_T0_.kd
    .uniform_work_group_size: 1
    .uses_dynamic_stack: false
    .vgpr_count:     22
    .vgpr_spill_count: 0
    .wavefront_size: 32
    .workgroup_processor_mode: 1
  - .args:
      - .address_space:  global
        .offset:         0
        .size:           8
        .value_kind:     global_buffer
      - .address_space:  global
        .offset:         8
        .size:           8
        .value_kind:     global_buffer
      - .offset:         16
        .size:           4
        .value_kind:     by_value
      - .offset:         20
        .size:           4
        .value_kind:     by_value
      - .offset:         24
        .size:           4
        .value_kind:     by_value
      - .offset:         32
        .size:           8
        .value_kind:     by_value
      - .offset:         40
        .size:           1
        .value_kind:     by_value
      - .offset:         48
        .size:           4
        .value_kind:     hidden_block_count_x
      - .offset:         52
        .size:           4
        .value_kind:     hidden_block_count_y
      - .offset:         56
        .size:           4
        .value_kind:     hidden_block_count_z
      - .offset:         60
        .size:           2
        .value_kind:     hidden_group_size_x
      - .offset:         62
        .size:           2
        .value_kind:     hidden_group_size_y
      - .offset:         64
        .size:           2
        .value_kind:     hidden_group_size_z
      - .offset:         66
        .size:           2
        .value_kind:     hidden_remainder_x
      - .offset:         68
        .size:           2
        .value_kind:     hidden_remainder_y
      - .offset:         70
        .size:           2
        .value_kind:     hidden_remainder_z
      - .offset:         88
        .size:           8
        .value_kind:     hidden_global_offset_x
      - .offset:         96
        .size:           8
        .value_kind:     hidden_global_offset_y
      - .offset:         104
        .size:           8
        .value_kind:     hidden_global_offset_z
      - .offset:         112
        .size:           2
        .value_kind:     hidden_grid_dims
    .group_segment_fixed_size: 0
    .kernarg_segment_align: 8
    .kernarg_segment_size: 304
    .language:       OpenCL C
    .language_version:
      - 2
      - 0
    .max_flat_workgroup_size: 1024
    .name:           _ZN2at6native28tensor_kernel_scan_outer_dimIdjSt10multipliesIdEEEvPT_PKS4_jjjS4_T1_
    .private_segment_fixed_size: 0
    .sgpr_count:     29
    .sgpr_spill_count: 0
    .symbol:         _ZN2at6native28tensor_kernel_scan_outer_dimIdjSt10multipliesIdEEEvPT_PKS4_jjjS4_T1_.kd
    .uniform_work_group_size: 1
    .uses_dynamic_stack: false
    .vgpr_count:     9
    .vgpr_spill_count: 0
    .wavefront_size: 32
    .workgroup_processor_mode: 1
  - .args:
      - .address_space:  global
        .offset:         0
        .size:           8
        .value_kind:     global_buffer
      - .address_space:  global
        .offset:         8
        .size:           8
        .value_kind:     global_buffer
      - .offset:         16
        .size:           4
        .value_kind:     by_value
      - .offset:         20
        .size:           4
        .value_kind:     by_value
      - .offset:         24
        .size:           4
        .value_kind:     by_value
      - .offset:         32
        .size:           8
        .value_kind:     by_value
      - .offset:         40
        .size:           1
        .value_kind:     by_value
      - .offset:         48
        .size:           4
        .value_kind:     hidden_block_count_x
      - .offset:         52
        .size:           4
        .value_kind:     hidden_block_count_y
      - .offset:         56
        .size:           4
        .value_kind:     hidden_block_count_z
      - .offset:         60
        .size:           2
        .value_kind:     hidden_group_size_x
      - .offset:         62
        .size:           2
        .value_kind:     hidden_group_size_y
      - .offset:         64
        .size:           2
        .value_kind:     hidden_group_size_z
      - .offset:         66
        .size:           2
        .value_kind:     hidden_remainder_x
      - .offset:         68
        .size:           2
        .value_kind:     hidden_remainder_y
      - .offset:         70
        .size:           2
        .value_kind:     hidden_remainder_z
      - .offset:         88
        .size:           8
        .value_kind:     hidden_global_offset_x
      - .offset:         96
        .size:           8
        .value_kind:     hidden_global_offset_y
      - .offset:         104
        .size:           8
        .value_kind:     hidden_global_offset_z
      - .offset:         112
        .size:           2
        .value_kind:     hidden_grid_dims
    .group_segment_fixed_size: 0
    .kernarg_segment_align: 8
    .kernarg_segment_size: 304
    .language:       OpenCL C
    .language_version:
      - 2
      - 0
    .max_flat_workgroup_size: 1024
    .name:           _ZN2at6native28tensor_kernel_scan_outer_dimIdmSt10multipliesIdEEEvPT_PKS4_jjjS4_T1_
    .private_segment_fixed_size: 0
    .sgpr_count:     28
    .sgpr_spill_count: 0
    .symbol:         _ZN2at6native28tensor_kernel_scan_outer_dimIdmSt10multipliesIdEEEvPT_PKS4_jjjS4_T1_.kd
    .uniform_work_group_size: 1
    .uses_dynamic_stack: false
    .vgpr_count:     9
    .vgpr_spill_count: 0
    .wavefront_size: 32
    .workgroup_processor_mode: 1
  - .args:
      - .address_space:  global
        .offset:         0
        .size:           8
        .value_kind:     global_buffer
      - .offset:         8
        .size:           4
        .value_kind:     by_value
      - .offset:         12
        .size:           4
        .value_kind:     by_value
      - .address_space:  global
        .offset:         16
        .size:           8
        .value_kind:     global_buffer
      - .offset:         24
        .size:           4
        .value_kind:     hidden_block_count_x
      - .offset:         28
        .size:           4
        .value_kind:     hidden_block_count_y
      - .offset:         32
        .size:           4
        .value_kind:     hidden_block_count_z
      - .offset:         36
        .size:           2
        .value_kind:     hidden_group_size_x
      - .offset:         38
        .size:           2
        .value_kind:     hidden_group_size_y
      - .offset:         40
        .size:           2
        .value_kind:     hidden_group_size_z
      - .offset:         42
        .size:           2
        .value_kind:     hidden_remainder_x
      - .offset:         44
        .size:           2
        .value_kind:     hidden_remainder_y
      - .offset:         46
        .size:           2
        .value_kind:     hidden_remainder_z
      - .offset:         64
        .size:           8
        .value_kind:     hidden_global_offset_x
      - .offset:         72
        .size:           8
        .value_kind:     hidden_global_offset_y
      - .offset:         80
        .size:           8
        .value_kind:     hidden_global_offset_z
      - .offset:         88
        .size:           2
        .value_kind:     hidden_grid_dims
    .group_segment_fixed_size: 0
    .kernarg_segment_align: 8
    .kernarg_segment_size: 280
    .language:       OpenCL C
    .language_version:
      - 2
      - 0
    .max_flat_workgroup_size: 256
    .name:           _ZN7rocprim17ROCPRIM_304000_NS6detail31init_lookback_scan_state_kernelINS1_19lookback_scan_stateIfLb1ELb1EEEEEvT_jjPNS5_10value_typeE
    .private_segment_fixed_size: 0
    .sgpr_count:     18
    .sgpr_spill_count: 0
    .symbol:         _ZN7rocprim17ROCPRIM_304000_NS6detail31init_lookback_scan_state_kernelINS1_19lookback_scan_stateIfLb1ELb1EEEEEvT_jjPNS5_10value_typeE.kd
    .uniform_work_group_size: 1
    .uses_dynamic_stack: false
    .vgpr_count:     6
    .vgpr_spill_count: 0
    .wavefront_size: 32
    .workgroup_processor_mode: 1
  - .args:
      - .address_space:  global
        .offset:         0
        .size:           8
        .value_kind:     global_buffer
      - .offset:         8
        .size:           4
        .value_kind:     by_value
      - .offset:         12
        .size:           4
        .value_kind:     by_value
      - .address_space:  global
        .offset:         16
        .size:           8
        .value_kind:     global_buffer
      - .offset:         24
        .size:           4
        .value_kind:     hidden_block_count_x
      - .offset:         28
        .size:           4
        .value_kind:     hidden_block_count_y
      - .offset:         32
        .size:           4
        .value_kind:     hidden_block_count_z
      - .offset:         36
        .size:           2
        .value_kind:     hidden_group_size_x
      - .offset:         38
        .size:           2
        .value_kind:     hidden_group_size_y
      - .offset:         40
        .size:           2
        .value_kind:     hidden_group_size_z
      - .offset:         42
        .size:           2
        .value_kind:     hidden_remainder_x
      - .offset:         44
        .size:           2
        .value_kind:     hidden_remainder_y
      - .offset:         46
        .size:           2
        .value_kind:     hidden_remainder_z
      - .offset:         64
        .size:           8
        .value_kind:     hidden_global_offset_x
      - .offset:         72
        .size:           8
        .value_kind:     hidden_global_offset_y
      - .offset:         80
        .size:           8
        .value_kind:     hidden_global_offset_z
      - .offset:         88
        .size:           2
        .value_kind:     hidden_grid_dims
    .group_segment_fixed_size: 0
    .kernarg_segment_align: 8
    .kernarg_segment_size: 280
    .language:       OpenCL C
    .language_version:
      - 2
      - 0
    .max_flat_workgroup_size: 256
    .name:           _ZN7rocprim17ROCPRIM_304000_NS6detail31init_lookback_scan_state_kernelINS1_19lookback_scan_stateIfLb0ELb1EEEEEvT_jjPNS5_10value_typeE
    .private_segment_fixed_size: 0
    .sgpr_count:     18
    .sgpr_spill_count: 0
    .symbol:         _ZN7rocprim17ROCPRIM_304000_NS6detail31init_lookback_scan_state_kernelINS1_19lookback_scan_stateIfLb0ELb1EEEEEvT_jjPNS5_10value_typeE.kd
    .uniform_work_group_size: 1
    .uses_dynamic_stack: false
    .vgpr_count:     6
    .vgpr_spill_count: 0
    .wavefront_size: 32
    .workgroup_processor_mode: 1
  - .args:
      - .address_space:  global
        .offset:         0
        .size:           8
        .value_kind:     global_buffer
      - .address_space:  global
        .offset:         8
        .size:           8
        .value_kind:     global_buffer
      - .offset:         16
        .size:           8
        .value_kind:     by_value
      - .offset:         24
        .size:           4
        .value_kind:     by_value
      - .offset:         28
        .size:           1
        .value_kind:     by_value
      - .address_space:  global
        .offset:         32
        .size:           8
        .value_kind:     global_buffer
      - .offset:         40
        .size:           4
        .value_kind:     by_value
      - .address_space:  global
        .offset:         48
        .size:           8
        .value_kind:     global_buffer
      - .address_space:  global
        .offset:         56
        .size:           8
        .value_kind:     global_buffer
      - .offset:         64
        .size:           1
        .value_kind:     by_value
      - .offset:         65
        .size:           1
        .value_kind:     by_value
    .group_segment_fixed_size: 0
    .kernarg_segment_align: 8
    .kernarg_segment_size: 68
    .language:       OpenCL C
    .language_version:
      - 2
      - 0
    .max_flat_workgroup_size: 64
    .name:           _ZN7rocprim17ROCPRIM_304000_NS6detail20lookback_scan_kernelILNS1_25lookback_scan_determinismE0ELb0ENS1_19wrapped_scan_configINS0_14default_configEfEEPKfPfSt10multipliesIfEffNS1_19lookback_scan_stateIfLb1ELb1EEEEEvT2_T3_mT5_T4_T7_jPT6_SK_bb
    .private_segment_fixed_size: 0
    .sgpr_count:     0
    .sgpr_spill_count: 0
    .symbol:         _ZN7rocprim17ROCPRIM_304000_NS6detail20lookback_scan_kernelILNS1_25lookback_scan_determinismE0ELb0ENS1_19wrapped_scan_configINS0_14default_configEfEEPKfPfSt10multipliesIfEffNS1_19lookback_scan_stateIfLb1ELb1EEEEEvT2_T3_mT5_T4_T7_jPT6_SK_bb.kd
    .uniform_work_group_size: 1
    .uses_dynamic_stack: false
    .vgpr_count:     0
    .vgpr_spill_count: 0
    .wavefront_size: 32
    .workgroup_processor_mode: 1
  - .args:
      - .address_space:  global
        .offset:         0
        .size:           8
        .value_kind:     global_buffer
      - .address_space:  global
        .offset:         8
        .size:           8
        .value_kind:     global_buffer
      - .offset:         16
        .size:           8
        .value_kind:     by_value
      - .offset:         24
        .size:           4
        .value_kind:     by_value
      - .offset:         28
        .size:           1
        .value_kind:     by_value
      - .address_space:  global
        .offset:         32
        .size:           8
        .value_kind:     global_buffer
      - .offset:         40
        .size:           4
        .value_kind:     by_value
      - .address_space:  global
        .offset:         48
        .size:           8
        .value_kind:     global_buffer
      - .address_space:  global
        .offset:         56
        .size:           8
        .value_kind:     global_buffer
      - .offset:         64
        .size:           1
        .value_kind:     by_value
      - .offset:         65
        .size:           1
        .value_kind:     by_value
    .group_segment_fixed_size: 4224
    .kernarg_segment_align: 8
    .kernarg_segment_size: 68
    .language:       OpenCL C
    .language_version:
      - 2
      - 0
    .max_flat_workgroup_size: 64
    .name:           _ZN7rocprim17ROCPRIM_304000_NS6detail20lookback_scan_kernelILNS1_25lookback_scan_determinismE0ELb0ENS1_19wrapped_scan_configINS0_14default_configEfEEPKfPfSt10multipliesIfEffNS1_19lookback_scan_stateIfLb0ELb1EEEEEvT2_T3_mT5_T4_T7_jPT6_SK_bb
    .private_segment_fixed_size: 0
    .sgpr_count:     37
    .sgpr_spill_count: 0
    .symbol:         _ZN7rocprim17ROCPRIM_304000_NS6detail20lookback_scan_kernelILNS1_25lookback_scan_determinismE0ELb0ENS1_19wrapped_scan_configINS0_14default_configEfEEPKfPfSt10multipliesIfEffNS1_19lookback_scan_stateIfLb0ELb1EEEEEvT2_T3_mT5_T4_T7_jPT6_SK_bb.kd
    .uniform_work_group_size: 1
    .uses_dynamic_stack: false
    .vgpr_count:     59
    .vgpr_spill_count: 0
    .wavefront_size: 32
    .workgroup_processor_mode: 1
  - .args:
      - .address_space:  global
        .offset:         0
        .size:           8
        .value_kind:     global_buffer
      - .offset:         8
        .size:           8
        .value_kind:     by_value
      - .address_space:  global
        .offset:         16
        .size:           8
        .value_kind:     global_buffer
      - .offset:         24
        .size:           1
        .value_kind:     by_value
      - .offset:         32
        .size:           4
        .value_kind:     hidden_block_count_x
      - .offset:         36
        .size:           4
        .value_kind:     hidden_block_count_y
      - .offset:         40
        .size:           4
        .value_kind:     hidden_block_count_z
      - .offset:         44
        .size:           2
        .value_kind:     hidden_group_size_x
      - .offset:         46
        .size:           2
        .value_kind:     hidden_group_size_y
      - .offset:         48
        .size:           2
        .value_kind:     hidden_group_size_z
      - .offset:         50
        .size:           2
        .value_kind:     hidden_remainder_x
      - .offset:         52
        .size:           2
        .value_kind:     hidden_remainder_y
      - .offset:         54
        .size:           2
        .value_kind:     hidden_remainder_z
      - .offset:         72
        .size:           8
        .value_kind:     hidden_global_offset_x
      - .offset:         80
        .size:           8
        .value_kind:     hidden_global_offset_y
      - .offset:         88
        .size:           8
        .value_kind:     hidden_global_offset_z
      - .offset:         96
        .size:           2
        .value_kind:     hidden_grid_dims
    .group_segment_fixed_size: 0
    .kernarg_segment_align: 8
    .kernarg_segment_size: 288
    .language:       OpenCL C
    .language_version:
      - 2
      - 0
    .max_flat_workgroup_size: 1024
    .name:           _ZN7rocprim17ROCPRIM_304000_NS6detail16transform_kernelINS1_24wrapped_transform_configINS0_14default_configEfEEfPfS6_NS0_8identityIfEEEEvT1_mT2_T3_
    .private_segment_fixed_size: 0
    .sgpr_count:     18
    .sgpr_spill_count: 0
    .symbol:         _ZN7rocprim17ROCPRIM_304000_NS6detail16transform_kernelINS1_24wrapped_transform_configINS0_14default_configEfEEfPfS6_NS0_8identityIfEEEEvT1_mT2_T3_.kd
    .uniform_work_group_size: 1
    .uses_dynamic_stack: false
    .vgpr_count:     3
    .vgpr_spill_count: 0
    .wavefront_size: 32
    .workgroup_processor_mode: 1
  - .args:
      - .address_space:  global
        .offset:         0
        .size:           8
        .value_kind:     global_buffer
      - .offset:         8
        .size:           8
        .value_kind:     by_value
      - .offset:         16
        .size:           4
        .value_kind:     by_value
      - .address_space:  global
        .offset:         24
        .size:           8
        .value_kind:     global_buffer
      - .offset:         32
        .size:           1
        .value_kind:     by_value
    .group_segment_fixed_size: 4224
    .kernarg_segment_align: 8
    .kernarg_segment_size: 36
    .language:       OpenCL C
    .language_version:
      - 2
      - 0
    .max_flat_workgroup_size: 64
    .name:           _ZN7rocprim17ROCPRIM_304000_NS6detail18single_scan_kernelILb0ENS1_19wrapped_scan_configINS0_14default_configEfEEPKfPfSt10multipliesIfEffEEvT1_mT4_T2_T3_
    .private_segment_fixed_size: 0
    .sgpr_count:     26
    .sgpr_spill_count: 0
    .symbol:         _ZN7rocprim17ROCPRIM_304000_NS6detail18single_scan_kernelILb0ENS1_19wrapped_scan_configINS0_14default_configEfEEPKfPfSt10multipliesIfEffEEvT1_mT4_T2_T3_.kd
    .uniform_work_group_size: 1
    .uses_dynamic_stack: false
    .vgpr_count:     41
    .vgpr_spill_count: 0
    .wavefront_size: 32
    .workgroup_processor_mode: 1
  - .args:
      - .address_space:  global
        .offset:         0
        .size:           8
        .value_kind:     global_buffer
      - .address_space:  global
        .offset:         8
        .size:           8
        .value_kind:     global_buffer
      - .offset:         16
        .size:           4
        .value_kind:     by_value
      - .offset:         20
        .size:           4
        .value_kind:     by_value
      - .offset:         24
        .size:           4
        .value_kind:     by_value
      - .offset:         28
        .size:           4
        .value_kind:     by_value
      - .offset:         32
        .size:           1
        .value_kind:     by_value
      - .offset:         40
        .size:           4
        .value_kind:     hidden_block_count_x
      - .offset:         44
        .size:           4
        .value_kind:     hidden_block_count_y
      - .offset:         48
        .size:           4
        .value_kind:     hidden_block_count_z
      - .offset:         52
        .size:           2
        .value_kind:     hidden_group_size_x
      - .offset:         54
        .size:           2
        .value_kind:     hidden_group_size_y
      - .offset:         56
        .size:           2
        .value_kind:     hidden_group_size_z
      - .offset:         58
        .size:           2
        .value_kind:     hidden_remainder_x
      - .offset:         60
        .size:           2
        .value_kind:     hidden_remainder_y
      - .offset:         62
        .size:           2
        .value_kind:     hidden_remainder_z
      - .offset:         80
        .size:           8
        .value_kind:     hidden_global_offset_x
      - .offset:         88
        .size:           8
        .value_kind:     hidden_global_offset_y
      - .offset:         96
        .size:           8
        .value_kind:     hidden_global_offset_z
      - .offset:         104
        .size:           2
        .value_kind:     hidden_grid_dims
      - .offset:         160
        .size:           4
        .value_kind:     hidden_dynamic_lds_size
    .group_segment_fixed_size: 0
    .kernarg_segment_align: 8
    .kernarg_segment_size: 296
    .language:       OpenCL C
    .language_version:
      - 2
      - 0
    .max_flat_workgroup_size: 1024
    .name:           _ZN2at6native32tensor_kernel_scan_innermost_dimIfSt10multipliesIfEEEvPT_PKS4_jjjS4_T0_
    .private_segment_fixed_size: 0
    .sgpr_count:     28
    .sgpr_spill_count: 0
    .symbol:         _ZN2at6native32tensor_kernel_scan_innermost_dimIfSt10multipliesIfEEEvPT_PKS4_jjjS4_T0_.kd
    .uniform_work_group_size: 1
    .uses_dynamic_stack: false
    .vgpr_count:     20
    .vgpr_spill_count: 0
    .wavefront_size: 32
    .workgroup_processor_mode: 1
  - .args:
      - .address_space:  global
        .offset:         0
        .size:           8
        .value_kind:     global_buffer
      - .address_space:  global
        .offset:         8
        .size:           8
        .value_kind:     global_buffer
      - .offset:         16
        .size:           4
        .value_kind:     by_value
      - .offset:         20
        .size:           4
        .value_kind:     by_value
      - .offset:         24
        .size:           4
        .value_kind:     by_value
      - .offset:         28
        .size:           4
        .value_kind:     by_value
      - .offset:         32
        .size:           1
        .value_kind:     by_value
      - .offset:         40
        .size:           4
        .value_kind:     hidden_block_count_x
      - .offset:         44
        .size:           4
        .value_kind:     hidden_block_count_y
      - .offset:         48
        .size:           4
        .value_kind:     hidden_block_count_z
      - .offset:         52
        .size:           2
        .value_kind:     hidden_group_size_x
      - .offset:         54
        .size:           2
        .value_kind:     hidden_group_size_y
      - .offset:         56
        .size:           2
        .value_kind:     hidden_group_size_z
      - .offset:         58
        .size:           2
        .value_kind:     hidden_remainder_x
      - .offset:         60
        .size:           2
        .value_kind:     hidden_remainder_y
      - .offset:         62
        .size:           2
        .value_kind:     hidden_remainder_z
      - .offset:         80
        .size:           8
        .value_kind:     hidden_global_offset_x
      - .offset:         88
        .size:           8
        .value_kind:     hidden_global_offset_y
      - .offset:         96
        .size:           8
        .value_kind:     hidden_global_offset_z
      - .offset:         104
        .size:           2
        .value_kind:     hidden_grid_dims
    .group_segment_fixed_size: 0
    .kernarg_segment_align: 8
    .kernarg_segment_size: 296
    .language:       OpenCL C
    .language_version:
      - 2
      - 0
    .max_flat_workgroup_size: 1024
    .name:           _ZN2at6native28tensor_kernel_scan_outer_dimIfjSt10multipliesIfEEEvPT_PKS4_jjjS4_T1_
    .private_segment_fixed_size: 0
    .sgpr_count:     28
    .sgpr_spill_count: 0
    .symbol:         _ZN2at6native28tensor_kernel_scan_outer_dimIfjSt10multipliesIfEEEvPT_PKS4_jjjS4_T1_.kd
    .uniform_work_group_size: 1
    .uses_dynamic_stack: false
    .vgpr_count:     9
    .vgpr_spill_count: 0
    .wavefront_size: 32
    .workgroup_processor_mode: 1
  - .args:
      - .address_space:  global
        .offset:         0
        .size:           8
        .value_kind:     global_buffer
      - .address_space:  global
        .offset:         8
        .size:           8
        .value_kind:     global_buffer
      - .offset:         16
        .size:           4
        .value_kind:     by_value
      - .offset:         20
        .size:           4
        .value_kind:     by_value
      - .offset:         24
        .size:           4
        .value_kind:     by_value
      - .offset:         28
        .size:           4
        .value_kind:     by_value
      - .offset:         32
        .size:           1
        .value_kind:     by_value
      - .offset:         40
        .size:           4
        .value_kind:     hidden_block_count_x
      - .offset:         44
        .size:           4
        .value_kind:     hidden_block_count_y
      - .offset:         48
        .size:           4
        .value_kind:     hidden_block_count_z
      - .offset:         52
        .size:           2
        .value_kind:     hidden_group_size_x
      - .offset:         54
        .size:           2
        .value_kind:     hidden_group_size_y
      - .offset:         56
        .size:           2
        .value_kind:     hidden_group_size_z
      - .offset:         58
        .size:           2
        .value_kind:     hidden_remainder_x
      - .offset:         60
        .size:           2
        .value_kind:     hidden_remainder_y
      - .offset:         62
        .size:           2
        .value_kind:     hidden_remainder_z
      - .offset:         80
        .size:           8
        .value_kind:     hidden_global_offset_x
      - .offset:         88
        .size:           8
        .value_kind:     hidden_global_offset_y
      - .offset:         96
        .size:           8
        .value_kind:     hidden_global_offset_z
      - .offset:         104
        .size:           2
        .value_kind:     hidden_grid_dims
    .group_segment_fixed_size: 0
    .kernarg_segment_align: 8
    .kernarg_segment_size: 296
    .language:       OpenCL C
    .language_version:
      - 2
      - 0
    .max_flat_workgroup_size: 1024
    .name:           _ZN2at6native28tensor_kernel_scan_outer_dimIfmSt10multipliesIfEEEvPT_PKS4_jjjS4_T1_
    .private_segment_fixed_size: 0
    .sgpr_count:     27
    .sgpr_spill_count: 0
    .symbol:         _ZN2at6native28tensor_kernel_scan_outer_dimIfmSt10multipliesIfEEEvPT_PKS4_jjjS4_T1_.kd
    .uniform_work_group_size: 1
    .uses_dynamic_stack: false
    .vgpr_count:     9
    .vgpr_spill_count: 0
    .wavefront_size: 32
    .workgroup_processor_mode: 1
  - .args:
      - .offset:         0
        .size:           24
        .value_kind:     by_value
      - .offset:         24
        .size:           4
        .value_kind:     by_value
      - .offset:         28
        .size:           4
        .value_kind:     by_value
      - .address_space:  global
        .offset:         32
        .size:           8
        .value_kind:     global_buffer
      - .offset:         40
        .size:           4
        .value_kind:     hidden_block_count_x
      - .offset:         44
        .size:           4
        .value_kind:     hidden_block_count_y
      - .offset:         48
        .size:           4
        .value_kind:     hidden_block_count_z
      - .offset:         52
        .size:           2
        .value_kind:     hidden_group_size_x
      - .offset:         54
        .size:           2
        .value_kind:     hidden_group_size_y
      - .offset:         56
        .size:           2
        .value_kind:     hidden_group_size_z
      - .offset:         58
        .size:           2
        .value_kind:     hidden_remainder_x
      - .offset:         60
        .size:           2
        .value_kind:     hidden_remainder_y
      - .offset:         62
        .size:           2
        .value_kind:     hidden_remainder_z
      - .offset:         80
        .size:           8
        .value_kind:     hidden_global_offset_x
      - .offset:         88
        .size:           8
        .value_kind:     hidden_global_offset_y
      - .offset:         96
        .size:           8
        .value_kind:     hidden_global_offset_z
      - .offset:         104
        .size:           2
        .value_kind:     hidden_grid_dims
    .group_segment_fixed_size: 0
    .kernarg_segment_align: 8
    .kernarg_segment_size: 296
    .language:       OpenCL C
    .language_version:
      - 2
      - 0
    .max_flat_workgroup_size: 256
    .name:           _ZN7rocprim17ROCPRIM_304000_NS6detail31init_lookback_scan_state_kernelINS1_19lookback_scan_stateIN3c107complexIdEELb1ELb0EEEEEvT_jjPNS8_10value_typeE
    .private_segment_fixed_size: 0
    .sgpr_count:     18
    .sgpr_spill_count: 0
    .symbol:         _ZN7rocprim17ROCPRIM_304000_NS6detail31init_lookback_scan_state_kernelINS1_19lookback_scan_stateIN3c107complexIdEELb1ELb0EEEEEvT_jjPNS8_10value_typeE.kd
    .uniform_work_group_size: 1
    .uses_dynamic_stack: false
    .vgpr_count:     6
    .vgpr_spill_count: 0
    .wavefront_size: 32
    .workgroup_processor_mode: 1
  - .args:
      - .offset:         0
        .size:           24
        .value_kind:     by_value
      - .offset:         24
        .size:           4
        .value_kind:     by_value
      - .offset:         28
        .size:           4
        .value_kind:     by_value
      - .address_space:  global
        .offset:         32
        .size:           8
        .value_kind:     global_buffer
      - .offset:         40
        .size:           4
        .value_kind:     hidden_block_count_x
      - .offset:         44
        .size:           4
        .value_kind:     hidden_block_count_y
      - .offset:         48
        .size:           4
        .value_kind:     hidden_block_count_z
      - .offset:         52
        .size:           2
        .value_kind:     hidden_group_size_x
      - .offset:         54
        .size:           2
        .value_kind:     hidden_group_size_y
      - .offset:         56
        .size:           2
        .value_kind:     hidden_group_size_z
      - .offset:         58
        .size:           2
        .value_kind:     hidden_remainder_x
      - .offset:         60
        .size:           2
        .value_kind:     hidden_remainder_y
      - .offset:         62
        .size:           2
        .value_kind:     hidden_remainder_z
      - .offset:         80
        .size:           8
        .value_kind:     hidden_global_offset_x
      - .offset:         88
        .size:           8
        .value_kind:     hidden_global_offset_y
      - .offset:         96
        .size:           8
        .value_kind:     hidden_global_offset_z
      - .offset:         104
        .size:           2
        .value_kind:     hidden_grid_dims
    .group_segment_fixed_size: 0
    .kernarg_segment_align: 8
    .kernarg_segment_size: 296
    .language:       OpenCL C
    .language_version:
      - 2
      - 0
    .max_flat_workgroup_size: 256
    .name:           _ZN7rocprim17ROCPRIM_304000_NS6detail31init_lookback_scan_state_kernelINS1_19lookback_scan_stateIN3c107complexIdEELb0ELb0EEEEEvT_jjPNS8_10value_typeE
    .private_segment_fixed_size: 0
    .sgpr_count:     18
    .sgpr_spill_count: 0
    .symbol:         _ZN7rocprim17ROCPRIM_304000_NS6detail31init_lookback_scan_state_kernelINS1_19lookback_scan_stateIN3c107complexIdEELb0ELb0EEEEEvT_jjPNS8_10value_typeE.kd
    .uniform_work_group_size: 1
    .uses_dynamic_stack: false
    .vgpr_count:     6
    .vgpr_spill_count: 0
    .wavefront_size: 32
    .workgroup_processor_mode: 1
  - .args:
      - .address_space:  global
        .offset:         0
        .size:           8
        .value_kind:     global_buffer
      - .address_space:  global
        .offset:         8
        .size:           8
        .value_kind:     global_buffer
      - .offset:         16
        .size:           8
        .value_kind:     by_value
      - .offset:         32
        .size:           16
        .value_kind:     by_value
      - .offset:         48
        .size:           1
        .value_kind:     by_value
      - .offset:         56
        .size:           24
        .value_kind:     by_value
      - .offset:         80
        .size:           4
        .value_kind:     by_value
      - .address_space:  global
        .offset:         88
        .size:           8
        .value_kind:     global_buffer
      - .address_space:  global
        .offset:         96
        .size:           8
        .value_kind:     global_buffer
      - .offset:         104
        .size:           1
        .value_kind:     by_value
      - .offset:         105
        .size:           1
        .value_kind:     by_value
    .group_segment_fixed_size: 0
    .kernarg_segment_align: 16
    .kernarg_segment_size: 108
    .language:       OpenCL C
    .language_version:
      - 2
      - 0
    .max_flat_workgroup_size: 256
    .name:           _ZN7rocprim17ROCPRIM_304000_NS6detail20lookback_scan_kernelILNS1_25lookback_scan_determinismE0ELb0ENS1_19wrapped_scan_configINS0_14default_configEN3c107complexIdEEEEPKS8_PS8_St10multipliesIS8_ES8_S8_NS1_19lookback_scan_stateIS8_Lb1ELb0EEEEEvT2_T3_mT5_T4_T7_jPT6_SN_bb
    .private_segment_fixed_size: 0
    .sgpr_count:     0
    .sgpr_spill_count: 0
    .symbol:         _ZN7rocprim17ROCPRIM_304000_NS6detail20lookback_scan_kernelILNS1_25lookback_scan_determinismE0ELb0ENS1_19wrapped_scan_configINS0_14default_configEN3c107complexIdEEEEPKS8_PS8_St10multipliesIS8_ES8_S8_NS1_19lookback_scan_stateIS8_Lb1ELb0EEEEEvT2_T3_mT5_T4_T7_jPT6_SN_bb.kd
    .uniform_work_group_size: 1
    .uses_dynamic_stack: false
    .vgpr_count:     0
    .vgpr_spill_count: 0
    .wavefront_size: 32
    .workgroup_processor_mode: 1
  - .args:
      - .address_space:  global
        .offset:         0
        .size:           8
        .value_kind:     global_buffer
      - .address_space:  global
        .offset:         8
        .size:           8
        .value_kind:     global_buffer
      - .offset:         16
        .size:           8
        .value_kind:     by_value
      - .offset:         32
        .size:           16
        .value_kind:     by_value
      - .offset:         48
        .size:           1
        .value_kind:     by_value
      - .offset:         56
        .size:           24
        .value_kind:     by_value
      - .offset:         80
        .size:           4
        .value_kind:     by_value
      - .address_space:  global
        .offset:         88
        .size:           8
        .value_kind:     global_buffer
      - .address_space:  global
        .offset:         96
        .size:           8
        .value_kind:     global_buffer
      - .offset:         104
        .size:           1
        .value_kind:     by_value
      - .offset:         105
        .size:           1
        .value_kind:     by_value
    .group_segment_fixed_size: 33792
    .kernarg_segment_align: 16
    .kernarg_segment_size: 108
    .language:       OpenCL C
    .language_version:
      - 2
      - 0
    .max_flat_workgroup_size: 256
    .name:           _ZN7rocprim17ROCPRIM_304000_NS6detail20lookback_scan_kernelILNS1_25lookback_scan_determinismE0ELb0ENS1_19wrapped_scan_configINS0_14default_configEN3c107complexIdEEEEPKS8_PS8_St10multipliesIS8_ES8_S8_NS1_19lookback_scan_stateIS8_Lb0ELb0EEEEEvT2_T3_mT5_T4_T7_jPT6_SN_bb
    .private_segment_fixed_size: 0
    .sgpr_count:     29
    .sgpr_spill_count: 0
    .symbol:         _ZN7rocprim17ROCPRIM_304000_NS6detail20lookback_scan_kernelILNS1_25lookback_scan_determinismE0ELb0ENS1_19wrapped_scan_configINS0_14default_configEN3c107complexIdEEEEPKS8_PS8_St10multipliesIS8_ES8_S8_NS1_19lookback_scan_stateIS8_Lb0ELb0EEEEEvT2_T3_mT5_T4_T7_jPT6_SN_bb.kd
    .uniform_work_group_size: 1
    .uses_dynamic_stack: false
    .vgpr_count:     87
    .vgpr_spill_count: 0
    .wavefront_size: 32
    .workgroup_processor_mode: 1
  - .args:
      - .address_space:  global
        .offset:         0
        .size:           8
        .value_kind:     global_buffer
      - .offset:         8
        .size:           8
        .value_kind:     by_value
      - .address_space:  global
        .offset:         16
        .size:           8
        .value_kind:     global_buffer
      - .offset:         24
        .size:           1
        .value_kind:     by_value
      - .offset:         32
        .size:           4
        .value_kind:     hidden_block_count_x
      - .offset:         36
        .size:           4
        .value_kind:     hidden_block_count_y
      - .offset:         40
        .size:           4
        .value_kind:     hidden_block_count_z
      - .offset:         44
        .size:           2
        .value_kind:     hidden_group_size_x
      - .offset:         46
        .size:           2
        .value_kind:     hidden_group_size_y
      - .offset:         48
        .size:           2
        .value_kind:     hidden_group_size_z
      - .offset:         50
        .size:           2
        .value_kind:     hidden_remainder_x
      - .offset:         52
        .size:           2
        .value_kind:     hidden_remainder_y
      - .offset:         54
        .size:           2
        .value_kind:     hidden_remainder_z
      - .offset:         72
        .size:           8
        .value_kind:     hidden_global_offset_x
      - .offset:         80
        .size:           8
        .value_kind:     hidden_global_offset_y
      - .offset:         88
        .size:           8
        .value_kind:     hidden_global_offset_z
      - .offset:         96
        .size:           2
        .value_kind:     hidden_grid_dims
    .group_segment_fixed_size: 0
    .kernarg_segment_align: 8
    .kernarg_segment_size: 288
    .language:       OpenCL C
    .language_version:
      - 2
      - 0
    .max_flat_workgroup_size: 1024
    .name:           _ZN7rocprim17ROCPRIM_304000_NS6detail16transform_kernelINS1_24wrapped_transform_configINS0_14default_configEN3c107complexIdEEEES7_PS7_S9_NS0_8identityIS7_EEEEvT1_mT2_T3_
    .private_segment_fixed_size: 0
    .sgpr_count:     18
    .sgpr_spill_count: 0
    .symbol:         _ZN7rocprim17ROCPRIM_304000_NS6detail16transform_kernelINS1_24wrapped_transform_configINS0_14default_configEN3c107complexIdEEEES7_PS7_S9_NS0_8identityIS7_EEEEvT1_mT2_T3_.kd
    .uniform_work_group_size: 1
    .uses_dynamic_stack: false
    .vgpr_count:     5
    .vgpr_spill_count: 0
    .wavefront_size: 32
    .workgroup_processor_mode: 1
  - .args:
      - .address_space:  global
        .offset:         0
        .size:           8
        .value_kind:     global_buffer
      - .offset:         8
        .size:           8
        .value_kind:     by_value
      - .offset:         16
        .size:           16
        .value_kind:     by_value
      - .address_space:  global
        .offset:         32
        .size:           8
        .value_kind:     global_buffer
      - .offset:         40
        .size:           1
        .value_kind:     by_value
    .group_segment_fixed_size: 33792
    .kernarg_segment_align: 16
    .kernarg_segment_size: 44
    .language:       OpenCL C
    .language_version:
      - 2
      - 0
    .max_flat_workgroup_size: 256
    .name:           _ZN7rocprim17ROCPRIM_304000_NS6detail18single_scan_kernelILb0ENS1_19wrapped_scan_configINS0_14default_configEN3c107complexIdEEEEPKS7_PS7_St10multipliesIS7_ES7_S7_EEvT1_mT4_T2_T3_
    .private_segment_fixed_size: 0
    .sgpr_count:     18
    .sgpr_spill_count: 0
    .symbol:         _ZN7rocprim17ROCPRIM_304000_NS6detail18single_scan_kernelILb0ENS1_19wrapped_scan_configINS0_14default_configEN3c107complexIdEEEEPKS7_PS7_St10multipliesIS7_ES7_S7_EEvT1_mT4_T2_T3_.kd
    .uniform_work_group_size: 1
    .uses_dynamic_stack: false
    .vgpr_count:     88
    .vgpr_spill_count: 0
    .wavefront_size: 32
    .workgroup_processor_mode: 1
  - .args:
      - .address_space:  global
        .offset:         0
        .size:           8
        .value_kind:     global_buffer
      - .address_space:  global
        .offset:         8
        .size:           8
        .value_kind:     global_buffer
      - .offset:         16
        .size:           4
        .value_kind:     by_value
      - .offset:         20
        .size:           4
        .value_kind:     by_value
      - .offset:         24
        .size:           4
        .value_kind:     by_value
      - .offset:         32
        .size:           16
        .value_kind:     by_value
      - .offset:         48
        .size:           1
        .value_kind:     by_value
      - .offset:         56
        .size:           4
        .value_kind:     hidden_block_count_x
      - .offset:         60
        .size:           4
        .value_kind:     hidden_block_count_y
      - .offset:         64
        .size:           4
        .value_kind:     hidden_block_count_z
      - .offset:         68
        .size:           2
        .value_kind:     hidden_group_size_x
      - .offset:         70
        .size:           2
        .value_kind:     hidden_group_size_y
      - .offset:         72
        .size:           2
        .value_kind:     hidden_group_size_z
      - .offset:         74
        .size:           2
        .value_kind:     hidden_remainder_x
      - .offset:         76
        .size:           2
        .value_kind:     hidden_remainder_y
      - .offset:         78
        .size:           2
        .value_kind:     hidden_remainder_z
      - .offset:         96
        .size:           8
        .value_kind:     hidden_global_offset_x
      - .offset:         104
        .size:           8
        .value_kind:     hidden_global_offset_y
      - .offset:         112
        .size:           8
        .value_kind:     hidden_global_offset_z
      - .offset:         120
        .size:           2
        .value_kind:     hidden_grid_dims
      - .offset:         176
        .size:           4
        .value_kind:     hidden_dynamic_lds_size
    .group_segment_fixed_size: 0
    .kernarg_segment_align: 16
    .kernarg_segment_size: 312
    .language:       OpenCL C
    .language_version:
      - 2
      - 0
    .max_flat_workgroup_size: 1024
    .name:           _ZN2at6native32tensor_kernel_scan_innermost_dimIN3c107complexIdEESt10multipliesIS4_EEEvPT_PKS7_jjjS7_T0_
    .private_segment_fixed_size: 0
    .sgpr_count:     31
    .sgpr_spill_count: 0
    .symbol:         _ZN2at6native32tensor_kernel_scan_innermost_dimIN3c107complexIdEESt10multipliesIS4_EEEvPT_PKS7_jjjS7_T0_.kd
    .uniform_work_group_size: 1
    .uses_dynamic_stack: false
    .vgpr_count:     27
    .vgpr_spill_count: 0
    .wavefront_size: 32
    .workgroup_processor_mode: 1
  - .args:
      - .address_space:  global
        .offset:         0
        .size:           8
        .value_kind:     global_buffer
      - .address_space:  global
        .offset:         8
        .size:           8
        .value_kind:     global_buffer
      - .offset:         16
        .size:           4
        .value_kind:     by_value
      - .offset:         20
        .size:           4
        .value_kind:     by_value
      - .offset:         24
        .size:           4
        .value_kind:     by_value
      - .offset:         32
        .size:           16
        .value_kind:     by_value
      - .offset:         48
        .size:           1
        .value_kind:     by_value
      - .offset:         56
        .size:           4
        .value_kind:     hidden_block_count_x
      - .offset:         60
        .size:           4
        .value_kind:     hidden_block_count_y
      - .offset:         64
        .size:           4
        .value_kind:     hidden_block_count_z
      - .offset:         68
        .size:           2
        .value_kind:     hidden_group_size_x
      - .offset:         70
        .size:           2
        .value_kind:     hidden_group_size_y
      - .offset:         72
        .size:           2
        .value_kind:     hidden_group_size_z
      - .offset:         74
        .size:           2
        .value_kind:     hidden_remainder_x
      - .offset:         76
        .size:           2
        .value_kind:     hidden_remainder_y
      - .offset:         78
        .size:           2
        .value_kind:     hidden_remainder_z
      - .offset:         96
        .size:           8
        .value_kind:     hidden_global_offset_x
      - .offset:         104
        .size:           8
        .value_kind:     hidden_global_offset_y
      - .offset:         112
        .size:           8
        .value_kind:     hidden_global_offset_z
      - .offset:         120
        .size:           2
        .value_kind:     hidden_grid_dims
    .group_segment_fixed_size: 0
    .kernarg_segment_align: 16
    .kernarg_segment_size: 312
    .language:       OpenCL C
    .language_version:
      - 2
      - 0
    .max_flat_workgroup_size: 1024
    .name:           _ZN2at6native28tensor_kernel_scan_outer_dimIN3c107complexIdEEjSt10multipliesIS4_EEEvPT_PKS7_jjjS7_T1_
    .private_segment_fixed_size: 0
    .sgpr_count:     31
    .sgpr_spill_count: 0
    .symbol:         _ZN2at6native28tensor_kernel_scan_outer_dimIN3c107complexIdEEjSt10multipliesIS4_EEEvPT_PKS7_jjjS7_T1_.kd
    .uniform_work_group_size: 1
    .uses_dynamic_stack: false
    .vgpr_count:     15
    .vgpr_spill_count: 0
    .wavefront_size: 32
    .workgroup_processor_mode: 1
  - .args:
      - .address_space:  global
        .offset:         0
        .size:           8
        .value_kind:     global_buffer
      - .address_space:  global
        .offset:         8
        .size:           8
        .value_kind:     global_buffer
      - .offset:         16
        .size:           4
        .value_kind:     by_value
      - .offset:         20
        .size:           4
        .value_kind:     by_value
      - .offset:         24
        .size:           4
        .value_kind:     by_value
      - .offset:         32
        .size:           16
        .value_kind:     by_value
      - .offset:         48
        .size:           1
        .value_kind:     by_value
      - .offset:         56
        .size:           4
        .value_kind:     hidden_block_count_x
      - .offset:         60
        .size:           4
        .value_kind:     hidden_block_count_y
      - .offset:         64
        .size:           4
        .value_kind:     hidden_block_count_z
      - .offset:         68
        .size:           2
        .value_kind:     hidden_group_size_x
      - .offset:         70
        .size:           2
        .value_kind:     hidden_group_size_y
      - .offset:         72
        .size:           2
        .value_kind:     hidden_group_size_z
      - .offset:         74
        .size:           2
        .value_kind:     hidden_remainder_x
      - .offset:         76
        .size:           2
        .value_kind:     hidden_remainder_y
      - .offset:         78
        .size:           2
        .value_kind:     hidden_remainder_z
      - .offset:         96
        .size:           8
        .value_kind:     hidden_global_offset_x
      - .offset:         104
        .size:           8
        .value_kind:     hidden_global_offset_y
      - .offset:         112
        .size:           8
        .value_kind:     hidden_global_offset_z
      - .offset:         120
        .size:           2
        .value_kind:     hidden_grid_dims
    .group_segment_fixed_size: 0
    .kernarg_segment_align: 16
    .kernarg_segment_size: 312
    .language:       OpenCL C
    .language_version:
      - 2
      - 0
    .max_flat_workgroup_size: 1024
    .name:           _ZN2at6native28tensor_kernel_scan_outer_dimIN3c107complexIdEEmSt10multipliesIS4_EEEvPT_PKS7_jjjS7_T1_
    .private_segment_fixed_size: 0
    .sgpr_count:     30
    .sgpr_spill_count: 0
    .symbol:         _ZN2at6native28tensor_kernel_scan_outer_dimIN3c107complexIdEEmSt10multipliesIS4_EEEvPT_PKS7_jjjS7_T1_.kd
    .uniform_work_group_size: 1
    .uses_dynamic_stack: false
    .vgpr_count:     15
    .vgpr_spill_count: 0
    .wavefront_size: 32
    .workgroup_processor_mode: 1
  - .args:
      - .address_space:  global
        .offset:         0
        .size:           8
        .value_kind:     global_buffer
      - .offset:         8
        .size:           4
        .value_kind:     by_value
      - .offset:         12
        .size:           4
        .value_kind:     by_value
      - .address_space:  global
        .offset:         16
        .size:           8
        .value_kind:     global_buffer
      - .offset:         24
        .size:           4
        .value_kind:     hidden_block_count_x
      - .offset:         28
        .size:           4
        .value_kind:     hidden_block_count_y
      - .offset:         32
        .size:           4
        .value_kind:     hidden_block_count_z
      - .offset:         36
        .size:           2
        .value_kind:     hidden_group_size_x
      - .offset:         38
        .size:           2
        .value_kind:     hidden_group_size_y
      - .offset:         40
        .size:           2
        .value_kind:     hidden_group_size_z
      - .offset:         42
        .size:           2
        .value_kind:     hidden_remainder_x
      - .offset:         44
        .size:           2
        .value_kind:     hidden_remainder_y
      - .offset:         46
        .size:           2
        .value_kind:     hidden_remainder_z
      - .offset:         64
        .size:           8
        .value_kind:     hidden_global_offset_x
      - .offset:         72
        .size:           8
        .value_kind:     hidden_global_offset_y
      - .offset:         80
        .size:           8
        .value_kind:     hidden_global_offset_z
      - .offset:         88
        .size:           2
        .value_kind:     hidden_grid_dims
    .group_segment_fixed_size: 0
    .kernarg_segment_align: 8
    .kernarg_segment_size: 280
    .language:       OpenCL C
    .language_version:
      - 2
      - 0
    .max_flat_workgroup_size: 256
    .name:           _ZN7rocprim17ROCPRIM_304000_NS6detail31init_lookback_scan_state_kernelINS1_19lookback_scan_stateIN3c107complexIfEELb1ELb1EEEEEvT_jjPNS8_10value_typeE
    .private_segment_fixed_size: 0
    .sgpr_count:     18
    .sgpr_spill_count: 0
    .symbol:         _ZN7rocprim17ROCPRIM_304000_NS6detail31init_lookback_scan_state_kernelINS1_19lookback_scan_stateIN3c107complexIfEELb1ELb1EEEEEvT_jjPNS8_10value_typeE.kd
    .uniform_work_group_size: 1
    .uses_dynamic_stack: false
    .vgpr_count:     9
    .vgpr_spill_count: 0
    .wavefront_size: 32
    .workgroup_processor_mode: 1
  - .args:
      - .address_space:  global
        .offset:         0
        .size:           8
        .value_kind:     global_buffer
      - .offset:         8
        .size:           4
        .value_kind:     by_value
      - .offset:         12
        .size:           4
        .value_kind:     by_value
      - .address_space:  global
        .offset:         16
        .size:           8
        .value_kind:     global_buffer
      - .offset:         24
        .size:           4
        .value_kind:     hidden_block_count_x
      - .offset:         28
        .size:           4
        .value_kind:     hidden_block_count_y
      - .offset:         32
        .size:           4
        .value_kind:     hidden_block_count_z
      - .offset:         36
        .size:           2
        .value_kind:     hidden_group_size_x
      - .offset:         38
        .size:           2
        .value_kind:     hidden_group_size_y
      - .offset:         40
        .size:           2
        .value_kind:     hidden_group_size_z
      - .offset:         42
        .size:           2
        .value_kind:     hidden_remainder_x
      - .offset:         44
        .size:           2
        .value_kind:     hidden_remainder_y
      - .offset:         46
        .size:           2
        .value_kind:     hidden_remainder_z
      - .offset:         64
        .size:           8
        .value_kind:     hidden_global_offset_x
      - .offset:         72
        .size:           8
        .value_kind:     hidden_global_offset_y
      - .offset:         80
        .size:           8
        .value_kind:     hidden_global_offset_z
      - .offset:         88
        .size:           2
        .value_kind:     hidden_grid_dims
    .group_segment_fixed_size: 0
    .kernarg_segment_align: 8
    .kernarg_segment_size: 280
    .language:       OpenCL C
    .language_version:
      - 2
      - 0
    .max_flat_workgroup_size: 256
    .name:           _ZN7rocprim17ROCPRIM_304000_NS6detail31init_lookback_scan_state_kernelINS1_19lookback_scan_stateIN3c107complexIfEELb0ELb1EEEEEvT_jjPNS8_10value_typeE
    .private_segment_fixed_size: 0
    .sgpr_count:     18
    .sgpr_spill_count: 0
    .symbol:         _ZN7rocprim17ROCPRIM_304000_NS6detail31init_lookback_scan_state_kernelINS1_19lookback_scan_stateIN3c107complexIfEELb0ELb1EEEEEvT_jjPNS8_10value_typeE.kd
    .uniform_work_group_size: 1
    .uses_dynamic_stack: false
    .vgpr_count:     9
    .vgpr_spill_count: 0
    .wavefront_size: 32
    .workgroup_processor_mode: 1
  - .args:
      - .address_space:  global
        .offset:         0
        .size:           8
        .value_kind:     global_buffer
      - .address_space:  global
        .offset:         8
        .size:           8
        .value_kind:     global_buffer
      - .offset:         16
        .size:           8
        .value_kind:     by_value
      - .offset:         24
        .size:           8
        .value_kind:     by_value
      - .offset:         32
        .size:           1
        .value_kind:     by_value
      - .address_space:  global
        .offset:         40
        .size:           8
        .value_kind:     global_buffer
      - .offset:         48
        .size:           4
        .value_kind:     by_value
      - .address_space:  global
        .offset:         56
        .size:           8
        .value_kind:     global_buffer
      - .address_space:  global
        .offset:         64
        .size:           8
        .value_kind:     global_buffer
      - .offset:         72
        .size:           1
        .value_kind:     by_value
      - .offset:         73
        .size:           1
        .value_kind:     by_value
    .group_segment_fixed_size: 0
    .kernarg_segment_align: 8
    .kernarg_segment_size: 76
    .language:       OpenCL C
    .language_version:
      - 2
      - 0
    .max_flat_workgroup_size: 256
    .name:           _ZN7rocprim17ROCPRIM_304000_NS6detail20lookback_scan_kernelILNS1_25lookback_scan_determinismE0ELb0ENS1_19wrapped_scan_configINS0_14default_configEN3c107complexIfEEEEPKS8_PS8_St10multipliesIS8_ES8_S8_NS1_19lookback_scan_stateIS8_Lb1ELb1EEEEEvT2_T3_mT5_T4_T7_jPT6_SN_bb
    .private_segment_fixed_size: 0
    .sgpr_count:     0
    .sgpr_spill_count: 0
    .symbol:         _ZN7rocprim17ROCPRIM_304000_NS6detail20lookback_scan_kernelILNS1_25lookback_scan_determinismE0ELb0ENS1_19wrapped_scan_configINS0_14default_configEN3c107complexIfEEEEPKS8_PS8_St10multipliesIS8_ES8_S8_NS1_19lookback_scan_stateIS8_Lb1ELb1EEEEEvT2_T3_mT5_T4_T7_jPT6_SN_bb.kd
    .uniform_work_group_size: 1
    .uses_dynamic_stack: false
    .vgpr_count:     0
    .vgpr_spill_count: 0
    .wavefront_size: 32
    .workgroup_processor_mode: 1
  - .args:
      - .address_space:  global
        .offset:         0
        .size:           8
        .value_kind:     global_buffer
      - .address_space:  global
        .offset:         8
        .size:           8
        .value_kind:     global_buffer
      - .offset:         16
        .size:           8
        .value_kind:     by_value
      - .offset:         24
        .size:           8
        .value_kind:     by_value
      - .offset:         32
        .size:           1
        .value_kind:     by_value
      - .address_space:  global
        .offset:         40
        .size:           8
        .value_kind:     global_buffer
      - .offset:         48
        .size:           4
        .value_kind:     by_value
      - .address_space:  global
        .offset:         56
        .size:           8
        .value_kind:     global_buffer
      - .address_space:  global
        .offset:         64
        .size:           8
        .value_kind:     global_buffer
      - .offset:         72
        .size:           1
        .value_kind:     by_value
      - .offset:         73
        .size:           1
        .value_kind:     by_value
    .group_segment_fixed_size: 33792
    .kernarg_segment_align: 8
    .kernarg_segment_size: 76
    .language:       OpenCL C
    .language_version:
      - 2
      - 0
    .max_flat_workgroup_size: 256
    .name:           _ZN7rocprim17ROCPRIM_304000_NS6detail20lookback_scan_kernelILNS1_25lookback_scan_determinismE0ELb0ENS1_19wrapped_scan_configINS0_14default_configEN3c107complexIfEEEEPKS8_PS8_St10multipliesIS8_ES8_S8_NS1_19lookback_scan_stateIS8_Lb0ELb1EEEEEvT2_T3_mT5_T4_T7_jPT6_SN_bb
    .private_segment_fixed_size: 0
    .sgpr_count:     28
    .sgpr_spill_count: 0
    .symbol:         _ZN7rocprim17ROCPRIM_304000_NS6detail20lookback_scan_kernelILNS1_25lookback_scan_determinismE0ELb0ENS1_19wrapped_scan_configINS0_14default_configEN3c107complexIfEEEEPKS8_PS8_St10multipliesIS8_ES8_S8_NS1_19lookback_scan_stateIS8_Lb0ELb1EEEEEvT2_T3_mT5_T4_T7_jPT6_SN_bb.kd
    .uniform_work_group_size: 1
    .uses_dynamic_stack: false
    .vgpr_count:     109
    .vgpr_spill_count: 0
    .wavefront_size: 32
    .workgroup_processor_mode: 1
  - .args:
      - .address_space:  global
        .offset:         0
        .size:           8
        .value_kind:     global_buffer
      - .offset:         8
        .size:           8
        .value_kind:     by_value
      - .address_space:  global
        .offset:         16
        .size:           8
        .value_kind:     global_buffer
      - .offset:         24
        .size:           1
        .value_kind:     by_value
      - .offset:         32
        .size:           4
        .value_kind:     hidden_block_count_x
      - .offset:         36
        .size:           4
        .value_kind:     hidden_block_count_y
      - .offset:         40
        .size:           4
        .value_kind:     hidden_block_count_z
      - .offset:         44
        .size:           2
        .value_kind:     hidden_group_size_x
      - .offset:         46
        .size:           2
        .value_kind:     hidden_group_size_y
      - .offset:         48
        .size:           2
        .value_kind:     hidden_group_size_z
      - .offset:         50
        .size:           2
        .value_kind:     hidden_remainder_x
      - .offset:         52
        .size:           2
        .value_kind:     hidden_remainder_y
      - .offset:         54
        .size:           2
        .value_kind:     hidden_remainder_z
      - .offset:         72
        .size:           8
        .value_kind:     hidden_global_offset_x
      - .offset:         80
        .size:           8
        .value_kind:     hidden_global_offset_y
      - .offset:         88
        .size:           8
        .value_kind:     hidden_global_offset_z
      - .offset:         96
        .size:           2
        .value_kind:     hidden_grid_dims
    .group_segment_fixed_size: 0
    .kernarg_segment_align: 8
    .kernarg_segment_size: 288
    .language:       OpenCL C
    .language_version:
      - 2
      - 0
    .max_flat_workgroup_size: 512
    .name:           _ZN7rocprim17ROCPRIM_304000_NS6detail16transform_kernelINS1_24wrapped_transform_configINS0_14default_configEN3c107complexIfEEEES7_PS7_S9_NS0_8identityIS7_EEEEvT1_mT2_T3_
    .private_segment_fixed_size: 0
    .sgpr_count:     18
    .sgpr_spill_count: 0
    .symbol:         _ZN7rocprim17ROCPRIM_304000_NS6detail16transform_kernelINS1_24wrapped_transform_configINS0_14default_configEN3c107complexIfEEEES7_PS7_S9_NS0_8identityIS7_EEEEvT1_mT2_T3_.kd
    .uniform_work_group_size: 1
    .uses_dynamic_stack: false
    .vgpr_count:     3
    .vgpr_spill_count: 0
    .wavefront_size: 32
    .workgroup_processor_mode: 1
  - .args:
      - .address_space:  global
        .offset:         0
        .size:           8
        .value_kind:     global_buffer
      - .offset:         8
        .size:           8
        .value_kind:     by_value
      - .offset:         16
        .size:           8
        .value_kind:     by_value
      - .address_space:  global
        .offset:         24
        .size:           8
        .value_kind:     global_buffer
      - .offset:         32
        .size:           1
        .value_kind:     by_value
    .group_segment_fixed_size: 33792
    .kernarg_segment_align: 8
    .kernarg_segment_size: 36
    .language:       OpenCL C
    .language_version:
      - 2
      - 0
    .max_flat_workgroup_size: 256
    .name:           _ZN7rocprim17ROCPRIM_304000_NS6detail18single_scan_kernelILb0ENS1_19wrapped_scan_configINS0_14default_configEN3c107complexIfEEEEPKS7_PS7_St10multipliesIS7_ES7_S7_EEvT1_mT4_T2_T3_
    .private_segment_fixed_size: 0
    .sgpr_count:     24
    .sgpr_spill_count: 0
    .symbol:         _ZN7rocprim17ROCPRIM_304000_NS6detail18single_scan_kernelILb0ENS1_19wrapped_scan_configINS0_14default_configEN3c107complexIfEEEEPKS7_PS7_St10multipliesIS7_ES7_S7_EEvT1_mT4_T2_T3_.kd
    .uniform_work_group_size: 1
    .uses_dynamic_stack: false
    .vgpr_count:     106
    .vgpr_spill_count: 0
    .wavefront_size: 32
    .workgroup_processor_mode: 1
  - .args:
      - .address_space:  global
        .offset:         0
        .size:           8
        .value_kind:     global_buffer
      - .address_space:  global
        .offset:         8
        .size:           8
        .value_kind:     global_buffer
      - .offset:         16
        .size:           4
        .value_kind:     by_value
      - .offset:         20
        .size:           4
        .value_kind:     by_value
      - .offset:         24
        .size:           4
        .value_kind:     by_value
      - .offset:         32
        .size:           8
        .value_kind:     by_value
      - .offset:         40
        .size:           1
        .value_kind:     by_value
      - .offset:         48
        .size:           4
        .value_kind:     hidden_block_count_x
      - .offset:         52
        .size:           4
        .value_kind:     hidden_block_count_y
      - .offset:         56
        .size:           4
        .value_kind:     hidden_block_count_z
      - .offset:         60
        .size:           2
        .value_kind:     hidden_group_size_x
      - .offset:         62
        .size:           2
        .value_kind:     hidden_group_size_y
      - .offset:         64
        .size:           2
        .value_kind:     hidden_group_size_z
      - .offset:         66
        .size:           2
        .value_kind:     hidden_remainder_x
      - .offset:         68
        .size:           2
        .value_kind:     hidden_remainder_y
      - .offset:         70
        .size:           2
        .value_kind:     hidden_remainder_z
      - .offset:         88
        .size:           8
        .value_kind:     hidden_global_offset_x
      - .offset:         96
        .size:           8
        .value_kind:     hidden_global_offset_y
      - .offset:         104
        .size:           8
        .value_kind:     hidden_global_offset_z
      - .offset:         112
        .size:           2
        .value_kind:     hidden_grid_dims
      - .offset:         168
        .size:           4
        .value_kind:     hidden_dynamic_lds_size
    .group_segment_fixed_size: 0
    .kernarg_segment_align: 8
    .kernarg_segment_size: 304
    .language:       OpenCL C
    .language_version:
      - 2
      - 0
    .max_flat_workgroup_size: 1024
    .name:           _ZN2at6native32tensor_kernel_scan_innermost_dimIN3c107complexIfEESt10multipliesIS4_EEEvPT_PKS7_jjjS7_T0_
    .private_segment_fixed_size: 0
    .sgpr_count:     29
    .sgpr_spill_count: 0
    .symbol:         _ZN2at6native32tensor_kernel_scan_innermost_dimIN3c107complexIfEESt10multipliesIS4_EEEvPT_PKS7_jjjS7_T0_.kd
    .uniform_work_group_size: 1
    .uses_dynamic_stack: false
    .vgpr_count:     24
    .vgpr_spill_count: 0
    .wavefront_size: 32
    .workgroup_processor_mode: 1
  - .args:
      - .address_space:  global
        .offset:         0
        .size:           8
        .value_kind:     global_buffer
      - .address_space:  global
        .offset:         8
        .size:           8
        .value_kind:     global_buffer
      - .offset:         16
        .size:           4
        .value_kind:     by_value
      - .offset:         20
        .size:           4
        .value_kind:     by_value
      - .offset:         24
        .size:           4
        .value_kind:     by_value
      - .offset:         32
        .size:           8
        .value_kind:     by_value
      - .offset:         40
        .size:           1
        .value_kind:     by_value
      - .offset:         48
        .size:           4
        .value_kind:     hidden_block_count_x
      - .offset:         52
        .size:           4
        .value_kind:     hidden_block_count_y
      - .offset:         56
        .size:           4
        .value_kind:     hidden_block_count_z
      - .offset:         60
        .size:           2
        .value_kind:     hidden_group_size_x
      - .offset:         62
        .size:           2
        .value_kind:     hidden_group_size_y
      - .offset:         64
        .size:           2
        .value_kind:     hidden_group_size_z
      - .offset:         66
        .size:           2
        .value_kind:     hidden_remainder_x
      - .offset:         68
        .size:           2
        .value_kind:     hidden_remainder_y
      - .offset:         70
        .size:           2
        .value_kind:     hidden_remainder_z
      - .offset:         88
        .size:           8
        .value_kind:     hidden_global_offset_x
      - .offset:         96
        .size:           8
        .value_kind:     hidden_global_offset_y
      - .offset:         104
        .size:           8
        .value_kind:     hidden_global_offset_z
      - .offset:         112
        .size:           2
        .value_kind:     hidden_grid_dims
    .group_segment_fixed_size: 0
    .kernarg_segment_align: 8
    .kernarg_segment_size: 304
    .language:       OpenCL C
    .language_version:
      - 2
      - 0
    .max_flat_workgroup_size: 1024
    .name:           _ZN2at6native28tensor_kernel_scan_outer_dimIN3c107complexIfEEjSt10multipliesIS4_EEEvPT_PKS7_jjjS7_T1_
    .private_segment_fixed_size: 0
    .sgpr_count:     29
    .sgpr_spill_count: 0
    .symbol:         _ZN2at6native28tensor_kernel_scan_outer_dimIN3c107complexIfEEjSt10multipliesIS4_EEEvPT_PKS7_jjjS7_T1_.kd
    .uniform_work_group_size: 1
    .uses_dynamic_stack: false
    .vgpr_count:     13
    .vgpr_spill_count: 0
    .wavefront_size: 32
    .workgroup_processor_mode: 1
  - .args:
      - .address_space:  global
        .offset:         0
        .size:           8
        .value_kind:     global_buffer
      - .address_space:  global
        .offset:         8
        .size:           8
        .value_kind:     global_buffer
      - .offset:         16
        .size:           4
        .value_kind:     by_value
      - .offset:         20
        .size:           4
        .value_kind:     by_value
      - .offset:         24
        .size:           4
        .value_kind:     by_value
      - .offset:         32
        .size:           8
        .value_kind:     by_value
      - .offset:         40
        .size:           1
        .value_kind:     by_value
      - .offset:         48
        .size:           4
        .value_kind:     hidden_block_count_x
      - .offset:         52
        .size:           4
        .value_kind:     hidden_block_count_y
      - .offset:         56
        .size:           4
        .value_kind:     hidden_block_count_z
      - .offset:         60
        .size:           2
        .value_kind:     hidden_group_size_x
      - .offset:         62
        .size:           2
        .value_kind:     hidden_group_size_y
      - .offset:         64
        .size:           2
        .value_kind:     hidden_group_size_z
      - .offset:         66
        .size:           2
        .value_kind:     hidden_remainder_x
      - .offset:         68
        .size:           2
        .value_kind:     hidden_remainder_y
      - .offset:         70
        .size:           2
        .value_kind:     hidden_remainder_z
      - .offset:         88
        .size:           8
        .value_kind:     hidden_global_offset_x
      - .offset:         96
        .size:           8
        .value_kind:     hidden_global_offset_y
      - .offset:         104
        .size:           8
        .value_kind:     hidden_global_offset_z
      - .offset:         112
        .size:           2
        .value_kind:     hidden_grid_dims
    .group_segment_fixed_size: 0
    .kernarg_segment_align: 8
    .kernarg_segment_size: 304
    .language:       OpenCL C
    .language_version:
      - 2
      - 0
    .max_flat_workgroup_size: 1024
    .name:           _ZN2at6native28tensor_kernel_scan_outer_dimIN3c107complexIfEEmSt10multipliesIS4_EEEvPT_PKS7_jjjS7_T1_
    .private_segment_fixed_size: 0
    .sgpr_count:     28
    .sgpr_spill_count: 0
    .symbol:         _ZN2at6native28tensor_kernel_scan_outer_dimIN3c107complexIfEEmSt10multipliesIS4_EEEvPT_PKS7_jjjS7_T1_.kd
    .uniform_work_group_size: 1
    .uses_dynamic_stack: false
    .vgpr_count:     13
    .vgpr_spill_count: 0
    .wavefront_size: 32
    .workgroup_processor_mode: 1
  - .args:
      - .address_space:  global
        .offset:         0
        .size:           8
        .value_kind:     global_buffer
      - .offset:         8
        .size:           4
        .value_kind:     by_value
      - .offset:         12
        .size:           4
        .value_kind:     by_value
      - .address_space:  global
        .offset:         16
        .size:           8
        .value_kind:     global_buffer
      - .offset:         24
        .size:           4
        .value_kind:     hidden_block_count_x
      - .offset:         28
        .size:           4
        .value_kind:     hidden_block_count_y
      - .offset:         32
        .size:           4
        .value_kind:     hidden_block_count_z
      - .offset:         36
        .size:           2
        .value_kind:     hidden_group_size_x
      - .offset:         38
        .size:           2
        .value_kind:     hidden_group_size_y
      - .offset:         40
        .size:           2
        .value_kind:     hidden_group_size_z
      - .offset:         42
        .size:           2
        .value_kind:     hidden_remainder_x
      - .offset:         44
        .size:           2
        .value_kind:     hidden_remainder_y
      - .offset:         46
        .size:           2
        .value_kind:     hidden_remainder_z
      - .offset:         64
        .size:           8
        .value_kind:     hidden_global_offset_x
      - .offset:         72
        .size:           8
        .value_kind:     hidden_global_offset_y
      - .offset:         80
        .size:           8
        .value_kind:     hidden_global_offset_z
      - .offset:         88
        .size:           2
        .value_kind:     hidden_grid_dims
    .group_segment_fixed_size: 0
    .kernarg_segment_align: 8
    .kernarg_segment_size: 280
    .language:       OpenCL C
    .language_version:
      - 2
      - 0
    .max_flat_workgroup_size: 256
    .name:           _ZN7rocprim17ROCPRIM_304000_NS6detail31init_lookback_scan_state_kernelINS1_19lookback_scan_stateIN3c104HalfELb1ELb1EEEEEvT_jjPNS7_10value_typeE
    .private_segment_fixed_size: 0
    .sgpr_count:     18
    .sgpr_spill_count: 0
    .symbol:         _ZN7rocprim17ROCPRIM_304000_NS6detail31init_lookback_scan_state_kernelINS1_19lookback_scan_stateIN3c104HalfELb1ELb1EEEEEvT_jjPNS7_10value_typeE.kd
    .uniform_work_group_size: 1
    .uses_dynamic_stack: false
    .vgpr_count:     6
    .vgpr_spill_count: 0
    .wavefront_size: 32
    .workgroup_processor_mode: 1
  - .args:
      - .address_space:  global
        .offset:         0
        .size:           8
        .value_kind:     global_buffer
      - .offset:         8
        .size:           4
        .value_kind:     by_value
      - .offset:         12
        .size:           4
        .value_kind:     by_value
      - .address_space:  global
        .offset:         16
        .size:           8
        .value_kind:     global_buffer
      - .offset:         24
        .size:           4
        .value_kind:     hidden_block_count_x
      - .offset:         28
        .size:           4
        .value_kind:     hidden_block_count_y
      - .offset:         32
        .size:           4
        .value_kind:     hidden_block_count_z
      - .offset:         36
        .size:           2
        .value_kind:     hidden_group_size_x
      - .offset:         38
        .size:           2
        .value_kind:     hidden_group_size_y
      - .offset:         40
        .size:           2
        .value_kind:     hidden_group_size_z
      - .offset:         42
        .size:           2
        .value_kind:     hidden_remainder_x
      - .offset:         44
        .size:           2
        .value_kind:     hidden_remainder_y
      - .offset:         46
        .size:           2
        .value_kind:     hidden_remainder_z
      - .offset:         64
        .size:           8
        .value_kind:     hidden_global_offset_x
      - .offset:         72
        .size:           8
        .value_kind:     hidden_global_offset_y
      - .offset:         80
        .size:           8
        .value_kind:     hidden_global_offset_z
      - .offset:         88
        .size:           2
        .value_kind:     hidden_grid_dims
    .group_segment_fixed_size: 0
    .kernarg_segment_align: 8
    .kernarg_segment_size: 280
    .language:       OpenCL C
    .language_version:
      - 2
      - 0
    .max_flat_workgroup_size: 256
    .name:           _ZN7rocprim17ROCPRIM_304000_NS6detail31init_lookback_scan_state_kernelINS1_19lookback_scan_stateIN3c104HalfELb0ELb1EEEEEvT_jjPNS7_10value_typeE
    .private_segment_fixed_size: 0
    .sgpr_count:     18
    .sgpr_spill_count: 0
    .symbol:         _ZN7rocprim17ROCPRIM_304000_NS6detail31init_lookback_scan_state_kernelINS1_19lookback_scan_stateIN3c104HalfELb0ELb1EEEEEvT_jjPNS7_10value_typeE.kd
    .uniform_work_group_size: 1
    .uses_dynamic_stack: false
    .vgpr_count:     6
    .vgpr_spill_count: 0
    .wavefront_size: 32
    .workgroup_processor_mode: 1
  - .args:
      - .address_space:  global
        .offset:         0
        .size:           8
        .value_kind:     global_buffer
      - .address_space:  global
        .offset:         8
        .size:           8
        .value_kind:     global_buffer
      - .offset:         16
        .size:           8
        .value_kind:     by_value
      - .offset:         24
        .size:           2
        .value_kind:     by_value
      - .offset:         26
        .size:           1
        .value_kind:     by_value
      - .address_space:  global
        .offset:         32
        .size:           8
        .value_kind:     global_buffer
      - .offset:         40
        .size:           4
        .value_kind:     by_value
      - .address_space:  global
        .offset:         48
        .size:           8
        .value_kind:     global_buffer
      - .address_space:  global
        .offset:         56
        .size:           8
        .value_kind:     global_buffer
      - .offset:         64
        .size:           1
        .value_kind:     by_value
      - .offset:         65
        .size:           1
        .value_kind:     by_value
    .group_segment_fixed_size: 0
    .kernarg_segment_align: 8
    .kernarg_segment_size: 68
    .language:       OpenCL C
    .language_version:
      - 2
      - 0
    .max_flat_workgroup_size: 64
    .name:           _ZN7rocprim17ROCPRIM_304000_NS6detail20lookback_scan_kernelILNS1_25lookback_scan_determinismE0ELb0ENS1_19wrapped_scan_configINS0_14default_configEN3c104HalfEEEPKS7_PS7_St10multipliesIS7_ES7_S7_NS1_19lookback_scan_stateIS7_Lb1ELb1EEEEEvT2_T3_mT5_T4_T7_jPT6_SM_bb
    .private_segment_fixed_size: 0
    .sgpr_count:     0
    .sgpr_spill_count: 0
    .symbol:         _ZN7rocprim17ROCPRIM_304000_NS6detail20lookback_scan_kernelILNS1_25lookback_scan_determinismE0ELb0ENS1_19wrapped_scan_configINS0_14default_configEN3c104HalfEEEPKS7_PS7_St10multipliesIS7_ES7_S7_NS1_19lookback_scan_stateIS7_Lb1ELb1EEEEEvT2_T3_mT5_T4_T7_jPT6_SM_bb.kd
    .uniform_work_group_size: 1
    .uses_dynamic_stack: false
    .vgpr_count:     0
    .vgpr_spill_count: 0
    .wavefront_size: 32
    .workgroup_processor_mode: 1
  - .args:
      - .address_space:  global
        .offset:         0
        .size:           8
        .value_kind:     global_buffer
      - .address_space:  global
        .offset:         8
        .size:           8
        .value_kind:     global_buffer
      - .offset:         16
        .size:           8
        .value_kind:     by_value
      - .offset:         24
        .size:           2
        .value_kind:     by_value
      - .offset:         26
        .size:           1
        .value_kind:     by_value
      - .address_space:  global
        .offset:         32
        .size:           8
        .value_kind:     global_buffer
      - .offset:         40
        .size:           4
        .value_kind:     by_value
      - .address_space:  global
        .offset:         48
        .size:           8
        .value_kind:     global_buffer
      - .address_space:  global
        .offset:         56
        .size:           8
        .value_kind:     global_buffer
      - .offset:         64
        .size:           1
        .value_kind:     by_value
      - .offset:         65
        .size:           1
        .value_kind:     by_value
    .group_segment_fixed_size: 2816
    .kernarg_segment_align: 8
    .kernarg_segment_size: 68
    .language:       OpenCL C
    .language_version:
      - 2
      - 0
    .max_flat_workgroup_size: 64
    .name:           _ZN7rocprim17ROCPRIM_304000_NS6detail20lookback_scan_kernelILNS1_25lookback_scan_determinismE0ELb0ENS1_19wrapped_scan_configINS0_14default_configEN3c104HalfEEEPKS7_PS7_St10multipliesIS7_ES7_S7_NS1_19lookback_scan_stateIS7_Lb0ELb1EEEEEvT2_T3_mT5_T4_T7_jPT6_SM_bb
    .private_segment_fixed_size: 0
    .sgpr_count:     22
    .sgpr_spill_count: 0
    .symbol:         _ZN7rocprim17ROCPRIM_304000_NS6detail20lookback_scan_kernelILNS1_25lookback_scan_determinismE0ELb0ENS1_19wrapped_scan_configINS0_14default_configEN3c104HalfEEEPKS7_PS7_St10multipliesIS7_ES7_S7_NS1_19lookback_scan_stateIS7_Lb0ELb1EEEEEvT2_T3_mT5_T4_T7_jPT6_SM_bb.kd
    .uniform_work_group_size: 1
    .uses_dynamic_stack: false
    .vgpr_count:     53
    .vgpr_spill_count: 0
    .wavefront_size: 32
    .workgroup_processor_mode: 1
  - .args:
      - .address_space:  global
        .offset:         0
        .size:           8
        .value_kind:     global_buffer
      - .offset:         8
        .size:           8
        .value_kind:     by_value
      - .address_space:  global
        .offset:         16
        .size:           8
        .value_kind:     global_buffer
      - .offset:         24
        .size:           1
        .value_kind:     by_value
      - .offset:         32
        .size:           4
        .value_kind:     hidden_block_count_x
      - .offset:         36
        .size:           4
        .value_kind:     hidden_block_count_y
      - .offset:         40
        .size:           4
        .value_kind:     hidden_block_count_z
      - .offset:         44
        .size:           2
        .value_kind:     hidden_group_size_x
      - .offset:         46
        .size:           2
        .value_kind:     hidden_group_size_y
      - .offset:         48
        .size:           2
        .value_kind:     hidden_group_size_z
      - .offset:         50
        .size:           2
        .value_kind:     hidden_remainder_x
      - .offset:         52
        .size:           2
        .value_kind:     hidden_remainder_y
      - .offset:         54
        .size:           2
        .value_kind:     hidden_remainder_z
      - .offset:         72
        .size:           8
        .value_kind:     hidden_global_offset_x
      - .offset:         80
        .size:           8
        .value_kind:     hidden_global_offset_y
      - .offset:         88
        .size:           8
        .value_kind:     hidden_global_offset_z
      - .offset:         96
        .size:           2
        .value_kind:     hidden_grid_dims
    .group_segment_fixed_size: 0
    .kernarg_segment_align: 8
    .kernarg_segment_size: 288
    .language:       OpenCL C
    .language_version:
      - 2
      - 0
    .max_flat_workgroup_size: 1024
    .name:           _ZN7rocprim17ROCPRIM_304000_NS6detail16transform_kernelINS1_24wrapped_transform_configINS0_14default_configEN3c104HalfEEES6_PS6_S8_NS0_8identityIS6_EEEEvT1_mT2_T3_
    .private_segment_fixed_size: 0
    .sgpr_count:     18
    .sgpr_spill_count: 0
    .symbol:         _ZN7rocprim17ROCPRIM_304000_NS6detail16transform_kernelINS1_24wrapped_transform_configINS0_14default_configEN3c104HalfEEES6_PS6_S8_NS0_8identityIS6_EEEEvT1_mT2_T3_.kd
    .uniform_work_group_size: 1
    .uses_dynamic_stack: false
    .vgpr_count:     6
    .vgpr_spill_count: 0
    .wavefront_size: 32
    .workgroup_processor_mode: 1
  - .args:
      - .address_space:  global
        .offset:         0
        .size:           8
        .value_kind:     global_buffer
      - .offset:         8
        .size:           8
        .value_kind:     by_value
      - .offset:         16
        .size:           2
        .value_kind:     by_value
      - .address_space:  global
        .offset:         24
        .size:           8
        .value_kind:     global_buffer
      - .offset:         32
        .size:           1
        .value_kind:     by_value
    .group_segment_fixed_size: 2816
    .kernarg_segment_align: 8
    .kernarg_segment_size: 36
    .language:       OpenCL C
    .language_version:
      - 2
      - 0
    .max_flat_workgroup_size: 64
    .name:           _ZN7rocprim17ROCPRIM_304000_NS6detail18single_scan_kernelILb0ENS1_19wrapped_scan_configINS0_14default_configEN3c104HalfEEEPKS6_PS6_St10multipliesIS6_ES6_S6_EEvT1_mT4_T2_T3_
    .private_segment_fixed_size: 0
    .sgpr_count:     28
    .sgpr_spill_count: 0
    .symbol:         _ZN7rocprim17ROCPRIM_304000_NS6detail18single_scan_kernelILb0ENS1_19wrapped_scan_configINS0_14default_configEN3c104HalfEEEPKS6_PS6_St10multipliesIS6_ES6_S6_EEvT1_mT4_T2_T3_.kd
    .uniform_work_group_size: 1
    .uses_dynamic_stack: false
    .vgpr_count:     34
    .vgpr_spill_count: 0
    .wavefront_size: 32
    .workgroup_processor_mode: 1
  - .args:
      - .address_space:  global
        .offset:         0
        .size:           8
        .value_kind:     global_buffer
      - .address_space:  global
        .offset:         8
        .size:           8
        .value_kind:     global_buffer
      - .offset:         16
        .size:           4
        .value_kind:     by_value
      - .offset:         20
        .size:           4
        .value_kind:     by_value
      - .offset:         24
        .size:           4
        .value_kind:     by_value
      - .offset:         28
        .size:           2
        .value_kind:     by_value
      - .offset:         30
        .size:           1
        .value_kind:     by_value
      - .offset:         32
        .size:           4
        .value_kind:     hidden_block_count_x
      - .offset:         36
        .size:           4
        .value_kind:     hidden_block_count_y
      - .offset:         40
        .size:           4
        .value_kind:     hidden_block_count_z
      - .offset:         44
        .size:           2
        .value_kind:     hidden_group_size_x
      - .offset:         46
        .size:           2
        .value_kind:     hidden_group_size_y
      - .offset:         48
        .size:           2
        .value_kind:     hidden_group_size_z
      - .offset:         50
        .size:           2
        .value_kind:     hidden_remainder_x
      - .offset:         52
        .size:           2
        .value_kind:     hidden_remainder_y
      - .offset:         54
        .size:           2
        .value_kind:     hidden_remainder_z
      - .offset:         72
        .size:           8
        .value_kind:     hidden_global_offset_x
      - .offset:         80
        .size:           8
        .value_kind:     hidden_global_offset_y
      - .offset:         88
        .size:           8
        .value_kind:     hidden_global_offset_z
      - .offset:         96
        .size:           2
        .value_kind:     hidden_grid_dims
      - .offset:         152
        .size:           4
        .value_kind:     hidden_dynamic_lds_size
    .group_segment_fixed_size: 0
    .kernarg_segment_align: 8
    .kernarg_segment_size: 288
    .language:       OpenCL C
    .language_version:
      - 2
      - 0
    .max_flat_workgroup_size: 1024
    .name:           _ZN2at6native32tensor_kernel_scan_innermost_dimIN3c104HalfESt10multipliesIS3_EEEvPT_PKS6_jjjS6_T0_
    .private_segment_fixed_size: 0
    .sgpr_count:     28
    .sgpr_spill_count: 0
    .symbol:         _ZN2at6native32tensor_kernel_scan_innermost_dimIN3c104HalfESt10multipliesIS3_EEEvPT_PKS6_jjjS6_T0_.kd
    .uniform_work_group_size: 1
    .uses_dynamic_stack: false
    .vgpr_count:     20
    .vgpr_spill_count: 0
    .wavefront_size: 32
    .workgroup_processor_mode: 1
  - .args:
      - .address_space:  global
        .offset:         0
        .size:           8
        .value_kind:     global_buffer
      - .address_space:  global
        .offset:         8
        .size:           8
        .value_kind:     global_buffer
      - .offset:         16
        .size:           4
        .value_kind:     by_value
      - .offset:         20
        .size:           4
        .value_kind:     by_value
      - .offset:         24
        .size:           4
        .value_kind:     by_value
      - .offset:         28
        .size:           2
        .value_kind:     by_value
      - .offset:         30
        .size:           1
        .value_kind:     by_value
      - .offset:         32
        .size:           4
        .value_kind:     hidden_block_count_x
      - .offset:         36
        .size:           4
        .value_kind:     hidden_block_count_y
      - .offset:         40
        .size:           4
        .value_kind:     hidden_block_count_z
      - .offset:         44
        .size:           2
        .value_kind:     hidden_group_size_x
      - .offset:         46
        .size:           2
        .value_kind:     hidden_group_size_y
      - .offset:         48
        .size:           2
        .value_kind:     hidden_group_size_z
      - .offset:         50
        .size:           2
        .value_kind:     hidden_remainder_x
      - .offset:         52
        .size:           2
        .value_kind:     hidden_remainder_y
      - .offset:         54
        .size:           2
        .value_kind:     hidden_remainder_z
      - .offset:         72
        .size:           8
        .value_kind:     hidden_global_offset_x
      - .offset:         80
        .size:           8
        .value_kind:     hidden_global_offset_y
      - .offset:         88
        .size:           8
        .value_kind:     hidden_global_offset_z
      - .offset:         96
        .size:           2
        .value_kind:     hidden_grid_dims
    .group_segment_fixed_size: 0
    .kernarg_segment_align: 8
    .kernarg_segment_size: 288
    .language:       OpenCL C
    .language_version:
      - 2
      - 0
    .max_flat_workgroup_size: 1024
    .name:           _ZN2at6native28tensor_kernel_scan_outer_dimIN3c104HalfEjSt10multipliesIS3_EEEvPT_PKS6_jjjS6_T1_
    .private_segment_fixed_size: 0
    .sgpr_count:     28
    .sgpr_spill_count: 0
    .symbol:         _ZN2at6native28tensor_kernel_scan_outer_dimIN3c104HalfEjSt10multipliesIS3_EEEvPT_PKS6_jjjS6_T1_.kd
    .uniform_work_group_size: 1
    .uses_dynamic_stack: false
    .vgpr_count:     9
    .vgpr_spill_count: 0
    .wavefront_size: 32
    .workgroup_processor_mode: 1
  - .args:
      - .address_space:  global
        .offset:         0
        .size:           8
        .value_kind:     global_buffer
      - .address_space:  global
        .offset:         8
        .size:           8
        .value_kind:     global_buffer
      - .offset:         16
        .size:           4
        .value_kind:     by_value
      - .offset:         20
        .size:           4
        .value_kind:     by_value
      - .offset:         24
        .size:           4
        .value_kind:     by_value
      - .offset:         28
        .size:           2
        .value_kind:     by_value
      - .offset:         30
        .size:           1
        .value_kind:     by_value
      - .offset:         32
        .size:           4
        .value_kind:     hidden_block_count_x
      - .offset:         36
        .size:           4
        .value_kind:     hidden_block_count_y
      - .offset:         40
        .size:           4
        .value_kind:     hidden_block_count_z
      - .offset:         44
        .size:           2
        .value_kind:     hidden_group_size_x
      - .offset:         46
        .size:           2
        .value_kind:     hidden_group_size_y
      - .offset:         48
        .size:           2
        .value_kind:     hidden_group_size_z
      - .offset:         50
        .size:           2
        .value_kind:     hidden_remainder_x
      - .offset:         52
        .size:           2
        .value_kind:     hidden_remainder_y
      - .offset:         54
        .size:           2
        .value_kind:     hidden_remainder_z
      - .offset:         72
        .size:           8
        .value_kind:     hidden_global_offset_x
      - .offset:         80
        .size:           8
        .value_kind:     hidden_global_offset_y
      - .offset:         88
        .size:           8
        .value_kind:     hidden_global_offset_z
      - .offset:         96
        .size:           2
        .value_kind:     hidden_grid_dims
    .group_segment_fixed_size: 0
    .kernarg_segment_align: 8
    .kernarg_segment_size: 288
    .language:       OpenCL C
    .language_version:
      - 2
      - 0
    .max_flat_workgroup_size: 1024
    .name:           _ZN2at6native28tensor_kernel_scan_outer_dimIN3c104HalfEmSt10multipliesIS3_EEEvPT_PKS6_jjjS6_T1_
    .private_segment_fixed_size: 0
    .sgpr_count:     27
    .sgpr_spill_count: 0
    .symbol:         _ZN2at6native28tensor_kernel_scan_outer_dimIN3c104HalfEmSt10multipliesIS3_EEEvPT_PKS6_jjjS6_T1_.kd
    .uniform_work_group_size: 1
    .uses_dynamic_stack: false
    .vgpr_count:     9
    .vgpr_spill_count: 0
    .wavefront_size: 32
    .workgroup_processor_mode: 1
  - .args:
      - .address_space:  global
        .offset:         0
        .size:           8
        .value_kind:     global_buffer
      - .offset:         8
        .size:           4
        .value_kind:     by_value
      - .offset:         12
        .size:           4
        .value_kind:     by_value
      - .address_space:  global
        .offset:         16
        .size:           8
        .value_kind:     global_buffer
      - .offset:         24
        .size:           4
        .value_kind:     hidden_block_count_x
      - .offset:         28
        .size:           4
        .value_kind:     hidden_block_count_y
      - .offset:         32
        .size:           4
        .value_kind:     hidden_block_count_z
      - .offset:         36
        .size:           2
        .value_kind:     hidden_group_size_x
      - .offset:         38
        .size:           2
        .value_kind:     hidden_group_size_y
      - .offset:         40
        .size:           2
        .value_kind:     hidden_group_size_z
      - .offset:         42
        .size:           2
        .value_kind:     hidden_remainder_x
      - .offset:         44
        .size:           2
        .value_kind:     hidden_remainder_y
      - .offset:         46
        .size:           2
        .value_kind:     hidden_remainder_z
      - .offset:         64
        .size:           8
        .value_kind:     hidden_global_offset_x
      - .offset:         72
        .size:           8
        .value_kind:     hidden_global_offset_y
      - .offset:         80
        .size:           8
        .value_kind:     hidden_global_offset_z
      - .offset:         88
        .size:           2
        .value_kind:     hidden_grid_dims
    .group_segment_fixed_size: 0
    .kernarg_segment_align: 8
    .kernarg_segment_size: 280
    .language:       OpenCL C
    .language_version:
      - 2
      - 0
    .max_flat_workgroup_size: 256
    .name:           _ZN7rocprim17ROCPRIM_304000_NS6detail31init_lookback_scan_state_kernelINS1_19lookback_scan_stateIN3c108BFloat16ELb1ELb1EEEEEvT_jjPNS7_10value_typeE
    .private_segment_fixed_size: 0
    .sgpr_count:     18
    .sgpr_spill_count: 0
    .symbol:         _ZN7rocprim17ROCPRIM_304000_NS6detail31init_lookback_scan_state_kernelINS1_19lookback_scan_stateIN3c108BFloat16ELb1ELb1EEEEEvT_jjPNS7_10value_typeE.kd
    .uniform_work_group_size: 1
    .uses_dynamic_stack: false
    .vgpr_count:     6
    .vgpr_spill_count: 0
    .wavefront_size: 32
    .workgroup_processor_mode: 1
  - .args:
      - .address_space:  global
        .offset:         0
        .size:           8
        .value_kind:     global_buffer
      - .offset:         8
        .size:           4
        .value_kind:     by_value
      - .offset:         12
        .size:           4
        .value_kind:     by_value
      - .address_space:  global
        .offset:         16
        .size:           8
        .value_kind:     global_buffer
      - .offset:         24
        .size:           4
        .value_kind:     hidden_block_count_x
      - .offset:         28
        .size:           4
        .value_kind:     hidden_block_count_y
      - .offset:         32
        .size:           4
        .value_kind:     hidden_block_count_z
      - .offset:         36
        .size:           2
        .value_kind:     hidden_group_size_x
      - .offset:         38
        .size:           2
        .value_kind:     hidden_group_size_y
      - .offset:         40
        .size:           2
        .value_kind:     hidden_group_size_z
      - .offset:         42
        .size:           2
        .value_kind:     hidden_remainder_x
      - .offset:         44
        .size:           2
        .value_kind:     hidden_remainder_y
      - .offset:         46
        .size:           2
        .value_kind:     hidden_remainder_z
      - .offset:         64
        .size:           8
        .value_kind:     hidden_global_offset_x
      - .offset:         72
        .size:           8
        .value_kind:     hidden_global_offset_y
      - .offset:         80
        .size:           8
        .value_kind:     hidden_global_offset_z
      - .offset:         88
        .size:           2
        .value_kind:     hidden_grid_dims
    .group_segment_fixed_size: 0
    .kernarg_segment_align: 8
    .kernarg_segment_size: 280
    .language:       OpenCL C
    .language_version:
      - 2
      - 0
    .max_flat_workgroup_size: 256
    .name:           _ZN7rocprim17ROCPRIM_304000_NS6detail31init_lookback_scan_state_kernelINS1_19lookback_scan_stateIN3c108BFloat16ELb0ELb1EEEEEvT_jjPNS7_10value_typeE
    .private_segment_fixed_size: 0
    .sgpr_count:     18
    .sgpr_spill_count: 0
    .symbol:         _ZN7rocprim17ROCPRIM_304000_NS6detail31init_lookback_scan_state_kernelINS1_19lookback_scan_stateIN3c108BFloat16ELb0ELb1EEEEEvT_jjPNS7_10value_typeE.kd
    .uniform_work_group_size: 1
    .uses_dynamic_stack: false
    .vgpr_count:     6
    .vgpr_spill_count: 0
    .wavefront_size: 32
    .workgroup_processor_mode: 1
  - .args:
      - .address_space:  global
        .offset:         0
        .size:           8
        .value_kind:     global_buffer
      - .address_space:  global
        .offset:         8
        .size:           8
        .value_kind:     global_buffer
      - .offset:         16
        .size:           8
        .value_kind:     by_value
      - .offset:         24
        .size:           2
        .value_kind:     by_value
      - .offset:         26
        .size:           1
        .value_kind:     by_value
      - .address_space:  global
        .offset:         32
        .size:           8
        .value_kind:     global_buffer
      - .offset:         40
        .size:           4
        .value_kind:     by_value
      - .address_space:  global
        .offset:         48
        .size:           8
        .value_kind:     global_buffer
      - .address_space:  global
        .offset:         56
        .size:           8
        .value_kind:     global_buffer
      - .offset:         64
        .size:           1
        .value_kind:     by_value
      - .offset:         65
        .size:           1
        .value_kind:     by_value
    .group_segment_fixed_size: 0
    .kernarg_segment_align: 8
    .kernarg_segment_size: 68
    .language:       OpenCL C
    .language_version:
      - 2
      - 0
    .max_flat_workgroup_size: 64
    .name:           _ZN7rocprim17ROCPRIM_304000_NS6detail20lookback_scan_kernelILNS1_25lookback_scan_determinismE0ELb0ENS1_19wrapped_scan_configINS0_14default_configEN3c108BFloat16EEEPKS7_PS7_St10multipliesIS7_ES7_S7_NS1_19lookback_scan_stateIS7_Lb1ELb1EEEEEvT2_T3_mT5_T4_T7_jPT6_SM_bb
    .private_segment_fixed_size: 0
    .sgpr_count:     0
    .sgpr_spill_count: 0
    .symbol:         _ZN7rocprim17ROCPRIM_304000_NS6detail20lookback_scan_kernelILNS1_25lookback_scan_determinismE0ELb0ENS1_19wrapped_scan_configINS0_14default_configEN3c108BFloat16EEEPKS7_PS7_St10multipliesIS7_ES7_S7_NS1_19lookback_scan_stateIS7_Lb1ELb1EEEEEvT2_T3_mT5_T4_T7_jPT6_SM_bb.kd
    .uniform_work_group_size: 1
    .uses_dynamic_stack: false
    .vgpr_count:     0
    .vgpr_spill_count: 0
    .wavefront_size: 32
    .workgroup_processor_mode: 1
  - .args:
      - .address_space:  global
        .offset:         0
        .size:           8
        .value_kind:     global_buffer
      - .address_space:  global
        .offset:         8
        .size:           8
        .value_kind:     global_buffer
      - .offset:         16
        .size:           8
        .value_kind:     by_value
      - .offset:         24
        .size:           2
        .value_kind:     by_value
      - .offset:         26
        .size:           1
        .value_kind:     by_value
      - .address_space:  global
        .offset:         32
        .size:           8
        .value_kind:     global_buffer
      - .offset:         40
        .size:           4
        .value_kind:     by_value
      - .address_space:  global
        .offset:         48
        .size:           8
        .value_kind:     global_buffer
      - .address_space:  global
        .offset:         56
        .size:           8
        .value_kind:     global_buffer
      - .offset:         64
        .size:           1
        .value_kind:     by_value
      - .offset:         65
        .size:           1
        .value_kind:     by_value
    .group_segment_fixed_size: 2816
    .kernarg_segment_align: 8
    .kernarg_segment_size: 68
    .language:       OpenCL C
    .language_version:
      - 2
      - 0
    .max_flat_workgroup_size: 64
    .name:           _ZN7rocprim17ROCPRIM_304000_NS6detail20lookback_scan_kernelILNS1_25lookback_scan_determinismE0ELb0ENS1_19wrapped_scan_configINS0_14default_configEN3c108BFloat16EEEPKS7_PS7_St10multipliesIS7_ES7_S7_NS1_19lookback_scan_stateIS7_Lb0ELb1EEEEEvT2_T3_mT5_T4_T7_jPT6_SM_bb
    .private_segment_fixed_size: 0
    .sgpr_count:     22
    .sgpr_spill_count: 0
    .symbol:         _ZN7rocprim17ROCPRIM_304000_NS6detail20lookback_scan_kernelILNS1_25lookback_scan_determinismE0ELb0ENS1_19wrapped_scan_configINS0_14default_configEN3c108BFloat16EEEPKS7_PS7_St10multipliesIS7_ES7_S7_NS1_19lookback_scan_stateIS7_Lb0ELb1EEEEEvT2_T3_mT5_T4_T7_jPT6_SM_bb.kd
    .uniform_work_group_size: 1
    .uses_dynamic_stack: false
    .vgpr_count:     50
    .vgpr_spill_count: 0
    .wavefront_size: 32
    .workgroup_processor_mode: 1
  - .args:
      - .address_space:  global
        .offset:         0
        .size:           8
        .value_kind:     global_buffer
      - .offset:         8
        .size:           8
        .value_kind:     by_value
      - .address_space:  global
        .offset:         16
        .size:           8
        .value_kind:     global_buffer
      - .offset:         24
        .size:           1
        .value_kind:     by_value
      - .offset:         32
        .size:           4
        .value_kind:     hidden_block_count_x
      - .offset:         36
        .size:           4
        .value_kind:     hidden_block_count_y
      - .offset:         40
        .size:           4
        .value_kind:     hidden_block_count_z
      - .offset:         44
        .size:           2
        .value_kind:     hidden_group_size_x
      - .offset:         46
        .size:           2
        .value_kind:     hidden_group_size_y
      - .offset:         48
        .size:           2
        .value_kind:     hidden_group_size_z
      - .offset:         50
        .size:           2
        .value_kind:     hidden_remainder_x
      - .offset:         52
        .size:           2
        .value_kind:     hidden_remainder_y
      - .offset:         54
        .size:           2
        .value_kind:     hidden_remainder_z
      - .offset:         72
        .size:           8
        .value_kind:     hidden_global_offset_x
      - .offset:         80
        .size:           8
        .value_kind:     hidden_global_offset_y
      - .offset:         88
        .size:           8
        .value_kind:     hidden_global_offset_z
      - .offset:         96
        .size:           2
        .value_kind:     hidden_grid_dims
    .group_segment_fixed_size: 0
    .kernarg_segment_align: 8
    .kernarg_segment_size: 288
    .language:       OpenCL C
    .language_version:
      - 2
      - 0
    .max_flat_workgroup_size: 1024
    .name:           _ZN7rocprim17ROCPRIM_304000_NS6detail16transform_kernelINS1_24wrapped_transform_configINS0_14default_configEN3c108BFloat16EEES6_PS6_S8_NS0_8identityIS6_EEEEvT1_mT2_T3_
    .private_segment_fixed_size: 0
    .sgpr_count:     18
    .sgpr_spill_count: 0
    .symbol:         _ZN7rocprim17ROCPRIM_304000_NS6detail16transform_kernelINS1_24wrapped_transform_configINS0_14default_configEN3c108BFloat16EEES6_PS6_S8_NS0_8identityIS6_EEEEvT1_mT2_T3_.kd
    .uniform_work_group_size: 1
    .uses_dynamic_stack: false
    .vgpr_count:     6
    .vgpr_spill_count: 0
    .wavefront_size: 32
    .workgroup_processor_mode: 1
  - .args:
      - .address_space:  global
        .offset:         0
        .size:           8
        .value_kind:     global_buffer
      - .offset:         8
        .size:           8
        .value_kind:     by_value
      - .offset:         16
        .size:           2
        .value_kind:     by_value
      - .address_space:  global
        .offset:         24
        .size:           8
        .value_kind:     global_buffer
      - .offset:         32
        .size:           1
        .value_kind:     by_value
    .group_segment_fixed_size: 2816
    .kernarg_segment_align: 8
    .kernarg_segment_size: 36
    .language:       OpenCL C
    .language_version:
      - 2
      - 0
    .max_flat_workgroup_size: 64
    .name:           _ZN7rocprim17ROCPRIM_304000_NS6detail18single_scan_kernelILb0ENS1_19wrapped_scan_configINS0_14default_configEN3c108BFloat16EEEPKS6_PS6_St10multipliesIS6_ES6_S6_EEvT1_mT4_T2_T3_
    .private_segment_fixed_size: 0
    .sgpr_count:     28
    .sgpr_spill_count: 0
    .symbol:         _ZN7rocprim17ROCPRIM_304000_NS6detail18single_scan_kernelILb0ENS1_19wrapped_scan_configINS0_14default_configEN3c108BFloat16EEEPKS6_PS6_St10multipliesIS6_ES6_S6_EEvT1_mT4_T2_T3_.kd
    .uniform_work_group_size: 1
    .uses_dynamic_stack: false
    .vgpr_count:     36
    .vgpr_spill_count: 0
    .wavefront_size: 32
    .workgroup_processor_mode: 1
  - .args:
      - .address_space:  global
        .offset:         0
        .size:           8
        .value_kind:     global_buffer
      - .address_space:  global
        .offset:         8
        .size:           8
        .value_kind:     global_buffer
      - .offset:         16
        .size:           4
        .value_kind:     by_value
      - .offset:         20
        .size:           4
        .value_kind:     by_value
      - .offset:         24
        .size:           4
        .value_kind:     by_value
      - .offset:         28
        .size:           2
        .value_kind:     by_value
      - .offset:         30
        .size:           1
        .value_kind:     by_value
      - .offset:         32
        .size:           4
        .value_kind:     hidden_block_count_x
      - .offset:         36
        .size:           4
        .value_kind:     hidden_block_count_y
      - .offset:         40
        .size:           4
        .value_kind:     hidden_block_count_z
      - .offset:         44
        .size:           2
        .value_kind:     hidden_group_size_x
      - .offset:         46
        .size:           2
        .value_kind:     hidden_group_size_y
      - .offset:         48
        .size:           2
        .value_kind:     hidden_group_size_z
      - .offset:         50
        .size:           2
        .value_kind:     hidden_remainder_x
      - .offset:         52
        .size:           2
        .value_kind:     hidden_remainder_y
      - .offset:         54
        .size:           2
        .value_kind:     hidden_remainder_z
      - .offset:         72
        .size:           8
        .value_kind:     hidden_global_offset_x
      - .offset:         80
        .size:           8
        .value_kind:     hidden_global_offset_y
      - .offset:         88
        .size:           8
        .value_kind:     hidden_global_offset_z
      - .offset:         96
        .size:           2
        .value_kind:     hidden_grid_dims
      - .offset:         152
        .size:           4
        .value_kind:     hidden_dynamic_lds_size
    .group_segment_fixed_size: 0
    .kernarg_segment_align: 8
    .kernarg_segment_size: 288
    .language:       OpenCL C
    .language_version:
      - 2
      - 0
    .max_flat_workgroup_size: 1024
    .name:           _ZN2at6native32tensor_kernel_scan_innermost_dimIN3c108BFloat16ESt10multipliesIS3_EEEvPT_PKS6_jjjS6_T0_
    .private_segment_fixed_size: 0
    .sgpr_count:     28
    .sgpr_spill_count: 0
    .symbol:         _ZN2at6native32tensor_kernel_scan_innermost_dimIN3c108BFloat16ESt10multipliesIS3_EEEvPT_PKS6_jjjS6_T0_.kd
    .uniform_work_group_size: 1
    .uses_dynamic_stack: false
    .vgpr_count:     20
    .vgpr_spill_count: 0
    .wavefront_size: 32
    .workgroup_processor_mode: 1
  - .args:
      - .address_space:  global
        .offset:         0
        .size:           8
        .value_kind:     global_buffer
      - .address_space:  global
        .offset:         8
        .size:           8
        .value_kind:     global_buffer
      - .offset:         16
        .size:           4
        .value_kind:     by_value
      - .offset:         20
        .size:           4
        .value_kind:     by_value
      - .offset:         24
        .size:           4
        .value_kind:     by_value
      - .offset:         28
        .size:           2
        .value_kind:     by_value
      - .offset:         30
        .size:           1
        .value_kind:     by_value
      - .offset:         32
        .size:           4
        .value_kind:     hidden_block_count_x
      - .offset:         36
        .size:           4
        .value_kind:     hidden_block_count_y
      - .offset:         40
        .size:           4
        .value_kind:     hidden_block_count_z
      - .offset:         44
        .size:           2
        .value_kind:     hidden_group_size_x
      - .offset:         46
        .size:           2
        .value_kind:     hidden_group_size_y
      - .offset:         48
        .size:           2
        .value_kind:     hidden_group_size_z
      - .offset:         50
        .size:           2
        .value_kind:     hidden_remainder_x
      - .offset:         52
        .size:           2
        .value_kind:     hidden_remainder_y
      - .offset:         54
        .size:           2
        .value_kind:     hidden_remainder_z
      - .offset:         72
        .size:           8
        .value_kind:     hidden_global_offset_x
      - .offset:         80
        .size:           8
        .value_kind:     hidden_global_offset_y
      - .offset:         88
        .size:           8
        .value_kind:     hidden_global_offset_z
      - .offset:         96
        .size:           2
        .value_kind:     hidden_grid_dims
    .group_segment_fixed_size: 0
    .kernarg_segment_align: 8
    .kernarg_segment_size: 288
    .language:       OpenCL C
    .language_version:
      - 2
      - 0
    .max_flat_workgroup_size: 1024
    .name:           _ZN2at6native28tensor_kernel_scan_outer_dimIN3c108BFloat16EjSt10multipliesIS3_EEEvPT_PKS6_jjjS6_T1_
    .private_segment_fixed_size: 0
    .sgpr_count:     29
    .sgpr_spill_count: 0
    .symbol:         _ZN2at6native28tensor_kernel_scan_outer_dimIN3c108BFloat16EjSt10multipliesIS3_EEEvPT_PKS6_jjjS6_T1_.kd
    .uniform_work_group_size: 1
    .uses_dynamic_stack: false
    .vgpr_count:     9
    .vgpr_spill_count: 0
    .wavefront_size: 32
    .workgroup_processor_mode: 1
  - .args:
      - .address_space:  global
        .offset:         0
        .size:           8
        .value_kind:     global_buffer
      - .address_space:  global
        .offset:         8
        .size:           8
        .value_kind:     global_buffer
      - .offset:         16
        .size:           4
        .value_kind:     by_value
      - .offset:         20
        .size:           4
        .value_kind:     by_value
      - .offset:         24
        .size:           4
        .value_kind:     by_value
      - .offset:         28
        .size:           2
        .value_kind:     by_value
      - .offset:         30
        .size:           1
        .value_kind:     by_value
      - .offset:         32
        .size:           4
        .value_kind:     hidden_block_count_x
      - .offset:         36
        .size:           4
        .value_kind:     hidden_block_count_y
      - .offset:         40
        .size:           4
        .value_kind:     hidden_block_count_z
      - .offset:         44
        .size:           2
        .value_kind:     hidden_group_size_x
      - .offset:         46
        .size:           2
        .value_kind:     hidden_group_size_y
      - .offset:         48
        .size:           2
        .value_kind:     hidden_group_size_z
      - .offset:         50
        .size:           2
        .value_kind:     hidden_remainder_x
      - .offset:         52
        .size:           2
        .value_kind:     hidden_remainder_y
      - .offset:         54
        .size:           2
        .value_kind:     hidden_remainder_z
      - .offset:         72
        .size:           8
        .value_kind:     hidden_global_offset_x
      - .offset:         80
        .size:           8
        .value_kind:     hidden_global_offset_y
      - .offset:         88
        .size:           8
        .value_kind:     hidden_global_offset_z
      - .offset:         96
        .size:           2
        .value_kind:     hidden_grid_dims
    .group_segment_fixed_size: 0
    .kernarg_segment_align: 8
    .kernarg_segment_size: 288
    .language:       OpenCL C
    .language_version:
      - 2
      - 0
    .max_flat_workgroup_size: 1024
    .name:           _ZN2at6native28tensor_kernel_scan_outer_dimIN3c108BFloat16EmSt10multipliesIS3_EEEvPT_PKS6_jjjS6_T1_
    .private_segment_fixed_size: 0
    .sgpr_count:     28
    .sgpr_spill_count: 0
    .symbol:         _ZN2at6native28tensor_kernel_scan_outer_dimIN3c108BFloat16EmSt10multipliesIS3_EEEvPT_PKS6_jjjS6_T1_.kd
    .uniform_work_group_size: 1
    .uses_dynamic_stack: false
    .vgpr_count:     9
    .vgpr_spill_count: 0
    .wavefront_size: 32
    .workgroup_processor_mode: 1
amdhsa.target:   amdgcn-amd-amdhsa--gfx1100
amdhsa.version:
  - 1
  - 2
...

	.end_amdgpu_metadata
